;; amdgpu-corpus repo=ROCm/rocFFT kind=compiled arch=gfx1201 opt=O3
	.text
	.amdgcn_target "amdgcn-amd-amdhsa--gfx1201"
	.amdhsa_code_object_version 6
	.protected	fft_rtc_fwd_len952_factors_17_4_2_7_wgs_204_tpt_68_halfLds_dp_ip_CI_unitstride_sbrr_C2R_dirReg ; -- Begin function fft_rtc_fwd_len952_factors_17_4_2_7_wgs_204_tpt_68_halfLds_dp_ip_CI_unitstride_sbrr_C2R_dirReg
	.globl	fft_rtc_fwd_len952_factors_17_4_2_7_wgs_204_tpt_68_halfLds_dp_ip_CI_unitstride_sbrr_C2R_dirReg
	.p2align	8
	.type	fft_rtc_fwd_len952_factors_17_4_2_7_wgs_204_tpt_68_halfLds_dp_ip_CI_unitstride_sbrr_C2R_dirReg,@function
fft_rtc_fwd_len952_factors_17_4_2_7_wgs_204_tpt_68_halfLds_dp_ip_CI_unitstride_sbrr_C2R_dirReg: ; @fft_rtc_fwd_len952_factors_17_4_2_7_wgs_204_tpt_68_halfLds_dp_ip_CI_unitstride_sbrr_C2R_dirReg
; %bb.0:
	s_load_b128 s[4:7], s[0:1], 0x0
	v_mul_u32_u24_e32 v1, 0x3c4, v0
	s_clause 0x1
	s_load_b64 s[8:9], s[0:1], 0x50
	s_load_b64 s[10:11], s[0:1], 0x18
	v_mov_b32_e32 v5, 0
	v_lshrrev_b32_e32 v1, 16, v1
	s_delay_alu instid0(VALU_DEP_1) | instskip(SKIP_3) | instid1(VALU_DEP_1)
	v_mad_co_u64_u32 v[1:2], null, ttmp9, 3, v[1:2]
	v_mov_b32_e32 v3, 0
	v_mov_b32_e32 v4, 0
	;; [unrolled: 1-line block ×4, first 2 shown]
	s_wait_kmcnt 0x0
	v_cmp_lt_u64_e64 s2, s[6:7], 2
	v_mov_b32_e32 v9, v1
	s_delay_alu instid0(VALU_DEP_2)
	s_and_b32 vcc_lo, exec_lo, s2
	s_cbranch_vccnz .LBB0_8
; %bb.1:
	s_load_b64 s[2:3], s[0:1], 0x10
	v_dual_mov_b32 v3, 0 :: v_dual_mov_b32 v8, v2
	v_dual_mov_b32 v4, 0 :: v_dual_mov_b32 v7, v1
	s_add_nc_u64 s[12:13], s[10:11], 8
	s_mov_b64 s[14:15], 1
	s_wait_kmcnt 0x0
	s_add_nc_u64 s[16:17], s[2:3], 8
	s_mov_b32 s3, 0
.LBB0_2:                                ; =>This Inner Loop Header: Depth=1
	s_load_b64 s[18:19], s[16:17], 0x0
                                        ; implicit-def: $vgpr9_vgpr10
	s_mov_b32 s2, exec_lo
	s_wait_kmcnt 0x0
	v_or_b32_e32 v6, s19, v8
	s_delay_alu instid0(VALU_DEP_1)
	v_cmpx_ne_u64_e32 0, v[5:6]
	s_wait_alu 0xfffe
	s_xor_b32 s20, exec_lo, s2
	s_cbranch_execz .LBB0_4
; %bb.3:                                ;   in Loop: Header=BB0_2 Depth=1
	s_cvt_f32_u32 s2, s18
	s_cvt_f32_u32 s21, s19
	s_sub_nc_u64 s[24:25], 0, s[18:19]
	s_wait_alu 0xfffe
	s_delay_alu instid0(SALU_CYCLE_1) | instskip(SKIP_1) | instid1(SALU_CYCLE_2)
	s_fmamk_f32 s2, s21, 0x4f800000, s2
	s_wait_alu 0xfffe
	v_s_rcp_f32 s2, s2
	s_delay_alu instid0(TRANS32_DEP_1) | instskip(SKIP_1) | instid1(SALU_CYCLE_2)
	s_mul_f32 s2, s2, 0x5f7ffffc
	s_wait_alu 0xfffe
	s_mul_f32 s21, s2, 0x2f800000
	s_wait_alu 0xfffe
	s_delay_alu instid0(SALU_CYCLE_2) | instskip(SKIP_1) | instid1(SALU_CYCLE_2)
	s_trunc_f32 s21, s21
	s_wait_alu 0xfffe
	s_fmamk_f32 s2, s21, 0xcf800000, s2
	s_cvt_u32_f32 s23, s21
	s_wait_alu 0xfffe
	s_delay_alu instid0(SALU_CYCLE_1) | instskip(SKIP_1) | instid1(SALU_CYCLE_2)
	s_cvt_u32_f32 s22, s2
	s_wait_alu 0xfffe
	s_mul_u64 s[26:27], s[24:25], s[22:23]
	s_wait_alu 0xfffe
	s_mul_hi_u32 s29, s22, s27
	s_mul_i32 s28, s22, s27
	s_mul_hi_u32 s2, s22, s26
	s_mul_i32 s30, s23, s26
	s_wait_alu 0xfffe
	s_add_nc_u64 s[28:29], s[2:3], s[28:29]
	s_mul_hi_u32 s21, s23, s26
	s_mul_hi_u32 s31, s23, s27
	s_add_co_u32 s2, s28, s30
	s_wait_alu 0xfffe
	s_add_co_ci_u32 s2, s29, s21
	s_mul_i32 s26, s23, s27
	s_add_co_ci_u32 s27, s31, 0
	s_wait_alu 0xfffe
	s_add_nc_u64 s[26:27], s[2:3], s[26:27]
	s_wait_alu 0xfffe
	v_add_co_u32 v2, s2, s22, s26
	s_delay_alu instid0(VALU_DEP_1) | instskip(SKIP_1) | instid1(VALU_DEP_1)
	s_cmp_lg_u32 s2, 0
	s_add_co_ci_u32 s23, s23, s27
	v_readfirstlane_b32 s22, v2
	s_wait_alu 0xfffe
	s_delay_alu instid0(VALU_DEP_1)
	s_mul_u64 s[24:25], s[24:25], s[22:23]
	s_wait_alu 0xfffe
	s_mul_hi_u32 s27, s22, s25
	s_mul_i32 s26, s22, s25
	s_mul_hi_u32 s2, s22, s24
	s_mul_i32 s28, s23, s24
	s_wait_alu 0xfffe
	s_add_nc_u64 s[26:27], s[2:3], s[26:27]
	s_mul_hi_u32 s21, s23, s24
	s_mul_hi_u32 s22, s23, s25
	s_wait_alu 0xfffe
	s_add_co_u32 s2, s26, s28
	s_add_co_ci_u32 s2, s27, s21
	s_mul_i32 s24, s23, s25
	s_add_co_ci_u32 s25, s22, 0
	s_wait_alu 0xfffe
	s_add_nc_u64 s[24:25], s[2:3], s[24:25]
	s_wait_alu 0xfffe
	v_add_co_u32 v2, s2, v2, s24
	s_delay_alu instid0(VALU_DEP_1) | instskip(SKIP_1) | instid1(VALU_DEP_1)
	s_cmp_lg_u32 s2, 0
	s_add_co_ci_u32 s2, s23, s25
	v_mul_hi_u32 v6, v7, v2
	s_wait_alu 0xfffe
	v_mad_co_u64_u32 v[9:10], null, v7, s2, 0
	v_mad_co_u64_u32 v[11:12], null, v8, v2, 0
	;; [unrolled: 1-line block ×3, first 2 shown]
	s_delay_alu instid0(VALU_DEP_3) | instskip(SKIP_1) | instid1(VALU_DEP_4)
	v_add_co_u32 v2, vcc_lo, v6, v9
	s_wait_alu 0xfffd
	v_add_co_ci_u32_e32 v6, vcc_lo, 0, v10, vcc_lo
	s_delay_alu instid0(VALU_DEP_2) | instskip(SKIP_1) | instid1(VALU_DEP_2)
	v_add_co_u32 v2, vcc_lo, v2, v11
	s_wait_alu 0xfffd
	v_add_co_ci_u32_e32 v2, vcc_lo, v6, v12, vcc_lo
	s_wait_alu 0xfffd
	v_add_co_ci_u32_e32 v6, vcc_lo, 0, v14, vcc_lo
	s_delay_alu instid0(VALU_DEP_2) | instskip(SKIP_1) | instid1(VALU_DEP_2)
	v_add_co_u32 v2, vcc_lo, v2, v13
	s_wait_alu 0xfffd
	v_add_co_ci_u32_e32 v6, vcc_lo, 0, v6, vcc_lo
	s_delay_alu instid0(VALU_DEP_2) | instskip(SKIP_1) | instid1(VALU_DEP_3)
	v_mul_lo_u32 v11, s19, v2
	v_mad_co_u64_u32 v[9:10], null, s18, v2, 0
	v_mul_lo_u32 v12, s18, v6
	s_delay_alu instid0(VALU_DEP_2) | instskip(NEXT) | instid1(VALU_DEP_2)
	v_sub_co_u32 v9, vcc_lo, v7, v9
	v_add3_u32 v10, v10, v12, v11
	s_delay_alu instid0(VALU_DEP_1) | instskip(SKIP_1) | instid1(VALU_DEP_1)
	v_sub_nc_u32_e32 v11, v8, v10
	s_wait_alu 0xfffd
	v_subrev_co_ci_u32_e64 v11, s2, s19, v11, vcc_lo
	v_add_co_u32 v12, s2, v2, 2
	s_wait_alu 0xf1ff
	v_add_co_ci_u32_e64 v13, s2, 0, v6, s2
	v_sub_co_u32 v14, s2, v9, s18
	v_sub_co_ci_u32_e32 v10, vcc_lo, v8, v10, vcc_lo
	s_wait_alu 0xf1ff
	v_subrev_co_ci_u32_e64 v11, s2, 0, v11, s2
	s_delay_alu instid0(VALU_DEP_3) | instskip(NEXT) | instid1(VALU_DEP_3)
	v_cmp_le_u32_e32 vcc_lo, s18, v14
	v_cmp_eq_u32_e64 s2, s19, v10
	s_wait_alu 0xfffd
	v_cndmask_b32_e64 v14, 0, -1, vcc_lo
	v_cmp_le_u32_e32 vcc_lo, s19, v11
	s_wait_alu 0xfffd
	v_cndmask_b32_e64 v15, 0, -1, vcc_lo
	v_cmp_le_u32_e32 vcc_lo, s18, v9
	;; [unrolled: 3-line block ×3, first 2 shown]
	s_wait_alu 0xfffd
	v_cndmask_b32_e64 v16, 0, -1, vcc_lo
	v_cmp_eq_u32_e32 vcc_lo, s19, v11
	s_wait_alu 0xf1ff
	s_delay_alu instid0(VALU_DEP_2)
	v_cndmask_b32_e64 v9, v16, v9, s2
	s_wait_alu 0xfffd
	v_cndmask_b32_e32 v11, v15, v14, vcc_lo
	v_add_co_u32 v14, vcc_lo, v2, 1
	s_wait_alu 0xfffd
	v_add_co_ci_u32_e32 v15, vcc_lo, 0, v6, vcc_lo
	s_delay_alu instid0(VALU_DEP_3) | instskip(SKIP_1) | instid1(VALU_DEP_2)
	v_cmp_ne_u32_e32 vcc_lo, 0, v11
	s_wait_alu 0xfffd
	v_dual_cndmask_b32 v10, v15, v13 :: v_dual_cndmask_b32 v11, v14, v12
	v_cmp_ne_u32_e32 vcc_lo, 0, v9
	s_wait_alu 0xfffd
	s_delay_alu instid0(VALU_DEP_2) | instskip(NEXT) | instid1(VALU_DEP_3)
	v_cndmask_b32_e32 v10, v6, v10, vcc_lo
	v_cndmask_b32_e32 v9, v2, v11, vcc_lo
.LBB0_4:                                ;   in Loop: Header=BB0_2 Depth=1
	s_wait_alu 0xfffe
	s_and_not1_saveexec_b32 s2, s20
	s_cbranch_execz .LBB0_6
; %bb.5:                                ;   in Loop: Header=BB0_2 Depth=1
	v_cvt_f32_u32_e32 v2, s18
	s_sub_co_i32 s20, 0, s18
	s_delay_alu instid0(VALU_DEP_1) | instskip(NEXT) | instid1(TRANS32_DEP_1)
	v_rcp_iflag_f32_e32 v2, v2
	v_mul_f32_e32 v2, 0x4f7ffffe, v2
	s_delay_alu instid0(VALU_DEP_1) | instskip(SKIP_1) | instid1(VALU_DEP_1)
	v_cvt_u32_f32_e32 v2, v2
	s_wait_alu 0xfffe
	v_mul_lo_u32 v6, s20, v2
	s_delay_alu instid0(VALU_DEP_1) | instskip(NEXT) | instid1(VALU_DEP_1)
	v_mul_hi_u32 v6, v2, v6
	v_add_nc_u32_e32 v2, v2, v6
	s_delay_alu instid0(VALU_DEP_1) | instskip(NEXT) | instid1(VALU_DEP_1)
	v_mul_hi_u32 v2, v7, v2
	v_mul_lo_u32 v6, v2, s18
	v_add_nc_u32_e32 v9, 1, v2
	s_delay_alu instid0(VALU_DEP_2) | instskip(NEXT) | instid1(VALU_DEP_1)
	v_sub_nc_u32_e32 v6, v7, v6
	v_subrev_nc_u32_e32 v10, s18, v6
	v_cmp_le_u32_e32 vcc_lo, s18, v6
	s_wait_alu 0xfffd
	s_delay_alu instid0(VALU_DEP_2) | instskip(SKIP_2) | instid1(VALU_DEP_3)
	v_cndmask_b32_e32 v6, v6, v10, vcc_lo
	v_mov_b32_e32 v10, v5
	v_cndmask_b32_e32 v2, v2, v9, vcc_lo
	v_cmp_le_u32_e32 vcc_lo, s18, v6
	s_delay_alu instid0(VALU_DEP_2) | instskip(SKIP_1) | instid1(VALU_DEP_1)
	v_add_nc_u32_e32 v9, 1, v2
	s_wait_alu 0xfffd
	v_cndmask_b32_e32 v9, v2, v9, vcc_lo
.LBB0_6:                                ;   in Loop: Header=BB0_2 Depth=1
	s_wait_alu 0xfffe
	s_or_b32 exec_lo, exec_lo, s2
	s_load_b64 s[20:21], s[12:13], 0x0
	v_mul_lo_u32 v2, v10, s18
	v_mul_lo_u32 v6, v9, s19
	v_mad_co_u64_u32 v[11:12], null, v9, s18, 0
	s_add_nc_u64 s[14:15], s[14:15], 1
	s_add_nc_u64 s[12:13], s[12:13], 8
	s_wait_alu 0xfffe
	v_cmp_ge_u64_e64 s2, s[14:15], s[6:7]
	s_add_nc_u64 s[16:17], s[16:17], 8
	s_delay_alu instid0(VALU_DEP_2) | instskip(NEXT) | instid1(VALU_DEP_3)
	v_add3_u32 v2, v12, v6, v2
	v_sub_co_u32 v6, vcc_lo, v7, v11
	s_wait_alu 0xfffd
	s_delay_alu instid0(VALU_DEP_2) | instskip(SKIP_3) | instid1(VALU_DEP_2)
	v_sub_co_ci_u32_e32 v2, vcc_lo, v8, v2, vcc_lo
	s_and_b32 vcc_lo, exec_lo, s2
	s_wait_kmcnt 0x0
	v_mul_lo_u32 v7, s21, v6
	v_mul_lo_u32 v2, s20, v2
	v_mad_co_u64_u32 v[3:4], null, s20, v6, v[3:4]
	s_delay_alu instid0(VALU_DEP_1)
	v_add3_u32 v4, v7, v4, v2
	s_wait_alu 0xfffe
	s_cbranch_vccnz .LBB0_8
; %bb.7:                                ;   in Loop: Header=BB0_2 Depth=1
	v_dual_mov_b32 v7, v9 :: v_dual_mov_b32 v8, v10
	s_branch .LBB0_2
.LBB0_8:
	s_lshl_b64 s[2:3], s[6:7], 3
	v_mul_hi_u32 v2, 0xaaaaaaab, v1
	s_wait_alu 0xfffe
	s_add_nc_u64 s[2:3], s[10:11], s[2:3]
	s_load_b64 s[0:1], s[0:1], 0x20
	s_load_b64 s[2:3], s[2:3], 0x0
	v_mul_hi_u32 v5, 0x3c3c3c4, v0
	s_delay_alu instid0(VALU_DEP_2) | instskip(NEXT) | instid1(VALU_DEP_1)
	v_lshrrev_b32_e32 v2, 1, v2
	v_lshl_add_u32 v6, v2, 1, v2
	s_delay_alu instid0(VALU_DEP_1)
	v_sub_nc_u32_e32 v1, v1, v6
	s_wait_kmcnt 0x0
	v_cmp_gt_u64_e32 vcc_lo, s[0:1], v[9:10]
	v_mul_lo_u32 v7, s2, v10
	v_mul_lo_u32 v8, s3, v9
	v_mad_co_u64_u32 v[2:3], null, s2, v9, v[3:4]
	v_mul_u32_u24_e32 v4, 0x44, v5
	v_mul_u32_u24_e32 v11, 0x3b9, v1
	s_delay_alu instid0(VALU_DEP_2) | instskip(NEXT) | instid1(VALU_DEP_4)
	v_sub_nc_u32_e32 v4, v0, v4
	v_add3_u32 v3, v8, v3, v7
	v_mov_b32_e32 v5, 0
	s_delay_alu instid0(VALU_DEP_3) | instskip(NEXT) | instid1(VALU_DEP_3)
	v_dual_mov_b32 v84, v4 :: v_dual_lshlrev_b32 v89, 4, v11
	v_lshlrev_b64_e32 v[0:1], 4, v[2:3]
	scratch_store_b64 off, v[0:1], off offset:8 ; 8-byte Folded Spill
	s_and_saveexec_b32 s1, vcc_lo
	s_cbranch_execz .LBB0_12
; %bb.9:
	scratch_load_b64 v[0:1], off, off offset:8 ; 8-byte Folded Reload
	v_lshlrev_b64_e32 v[2:3], 4, v[4:5]
	s_mov_b32 s2, exec_lo
	s_wait_loadcnt 0x0
	v_add_co_u32 v0, s0, s8, v0
	s_wait_alu 0xf1ff
	v_add_co_ci_u32_e64 v1, s0, s9, v1, s0
	s_delay_alu instid0(VALU_DEP_2) | instskip(SKIP_1) | instid1(VALU_DEP_2)
	v_add_co_u32 v2, s0, v0, v2
	s_wait_alu 0xf1ff
	v_add_co_ci_u32_e64 v3, s0, v1, v3, s0
	s_clause 0xd
	global_load_b128 v[7:10], v[2:3], off
	global_load_b128 v[12:15], v[2:3], off offset:1088
	global_load_b128 v[16:19], v[2:3], off offset:2176
	;; [unrolled: 1-line block ×13, first 2 shown]
	v_lshlrev_b32_e32 v2, 4, v4
	s_delay_alu instid0(VALU_DEP_1)
	v_add3_u32 v6, 0, v89, v2
	v_dual_mov_b32 v2, v4 :: v_dual_mov_b32 v3, v5
	s_wait_loadcnt 0xd
	ds_store_b128 v6, v[7:10]
	s_wait_loadcnt 0xc
	ds_store_b128 v6, v[12:15] offset:1088
	s_wait_loadcnt 0xb
	ds_store_b128 v6, v[16:19] offset:2176
	s_wait_loadcnt 0xa
	ds_store_b128 v6, v[20:23] offset:3264
	s_wait_loadcnt 0x9
	ds_store_b128 v6, v[24:27] offset:4352
	s_wait_loadcnt 0x8
	ds_store_b128 v6, v[28:31] offset:5440
	s_wait_loadcnt 0x7
	ds_store_b128 v6, v[32:35] offset:6528
	s_wait_loadcnt 0x6
	ds_store_b128 v6, v[36:39] offset:7616
	s_wait_loadcnt 0x5
	ds_store_b128 v6, v[40:43] offset:8704
	s_wait_loadcnt 0x4
	ds_store_b128 v6, v[44:47] offset:9792
	s_wait_loadcnt 0x3
	ds_store_b128 v6, v[48:51] offset:10880
	s_wait_loadcnt 0x2
	ds_store_b128 v6, v[52:55] offset:11968
	s_wait_loadcnt 0x1
	ds_store_b128 v6, v[56:59] offset:13056
	s_wait_loadcnt 0x0
	ds_store_b128 v6, v[60:63] offset:14144
	v_cmpx_eq_u32_e32 0x43, v4
	s_cbranch_execz .LBB0_11
; %bb.10:
	global_load_b128 v[7:10], v[0:1], off offset:15232
	v_mov_b32_e32 v2, 0x43
	v_dual_mov_b32 v3, 0 :: v_dual_mov_b32 v4, 0x43
	s_wait_loadcnt 0x0
	ds_store_b128 v6, v[7:10] offset:14160
.LBB0_11:
	s_wait_alu 0xfffe
	s_or_b32 exec_lo, exec_lo, s2
	v_dual_mov_b32 v84, v4 :: v_dual_mov_b32 v5, v3
	v_mov_b32_e32 v4, v2
.LBB0_12:
	s_wait_alu 0xfffe
	s_or_b32 exec_lo, exec_lo, s1
	v_lshl_add_u32 v1, v11, 4, 0
	v_lshlrev_b32_e32 v0, 4, v84
	global_wb scope:SCOPE_SE
	s_wait_storecnt_dscnt 0x0
	v_lshlrev_b64_e32 v[4:5], 4, v[4:5]
	s_mov_b32 s1, exec_lo
	scratch_store_b32 off, v1, off offset:16 ; 4-byte Folded Spill
	v_add_nc_u32_e32 v176, v1, v0
	v_sub_nc_u32_e32 v10, v1, v0
	s_wait_storecnt 0x0
	s_barrier_signal -1
	s_barrier_wait -1
	global_inv scope:SCOPE_SE
	ds_load_b64 v[6:7], v176
	ds_load_b64 v[8:9], v10 offset:15232
	scratch_store_b64 off, v[4:5], off      ; 8-byte Folded Spill
	s_wait_dscnt 0x0
	v_add_f64_e32 v[0:1], v[6:7], v[8:9]
	v_add_f64_e64 v[2:3], v[6:7], -v[8:9]
	v_cmpx_ne_u32_e32 0, v84
	s_wait_alu 0xfffe
	s_xor_b32 s1, exec_lo, s1
	s_cbranch_execz .LBB0_14
; %bb.13:
	scratch_load_b64 v[0:1], off, off       ; 8-byte Folded Reload
	v_add_f64_e32 v[14:15], v[6:7], v[8:9]
	v_add_f64_e64 v[8:9], v[6:7], -v[8:9]
	s_wait_loadcnt 0x0
	v_add_co_u32 v0, s0, s4, v0
	s_wait_alu 0xf1ff
	v_add_co_ci_u32_e64 v1, s0, s5, v1, s0
	global_load_b128 v[2:5], v[0:1], off offset:14960
	ds_load_b64 v[0:1], v10 offset:15240
	ds_load_b64 v[12:13], v176 offset:8
	s_wait_dscnt 0x0
	v_add_f64_e32 v[6:7], v[0:1], v[12:13]
	v_add_f64_e64 v[0:1], v[12:13], -v[0:1]
	s_wait_loadcnt 0x0
	v_fma_f64 v[12:13], v[8:9], v[4:5], v[14:15]
	v_fma_f64 v[14:15], -v[8:9], v[4:5], v[14:15]
	s_delay_alu instid0(VALU_DEP_3) | instskip(SKIP_1) | instid1(VALU_DEP_4)
	v_fma_f64 v[16:17], v[6:7], v[4:5], -v[0:1]
	v_fma_f64 v[18:19], v[6:7], v[4:5], v[0:1]
	v_fma_f64 v[0:1], -v[6:7], v[2:3], v[12:13]
	s_delay_alu instid0(VALU_DEP_4) | instskip(NEXT) | instid1(VALU_DEP_4)
	v_fma_f64 v[4:5], v[6:7], v[2:3], v[14:15]
	v_fma_f64 v[6:7], v[8:9], v[2:3], v[16:17]
	s_delay_alu instid0(VALU_DEP_4)
	v_fma_f64 v[2:3], v[8:9], v[2:3], v[18:19]
	ds_store_b128 v10, v[4:7] offset:15232
.LBB0_14:
	s_wait_alu 0xfffe
	s_and_not1_saveexec_b32 s0, s1
	s_cbranch_execz .LBB0_16
; %bb.15:
	v_lshl_add_u32 v8, v11, 4, 0
	ds_load_b128 v[4:7], v8 offset:7616
	s_wait_dscnt 0x0
	v_add_f64_e32 v[4:5], v[4:5], v[4:5]
	v_mul_f64_e32 v[6:7], -2.0, v[6:7]
	ds_store_b128 v8, v[4:7] offset:7616
.LBB0_16:
	s_wait_alu 0xfffe
	s_or_b32 exec_lo, exec_lo, s0
	v_mov_b32_e32 v85, 0
	s_add_nc_u64 s[0:1], s[4:5], 0x3a70
	s_mov_b32 s10, 0x2a9d6da3
	s_mov_b32 s14, 0xeb564b22
	;; [unrolled: 1-line block ×3, first 2 shown]
	v_lshlrev_b64_e32 v[4:5], 4, v[84:85]
	s_mov_b32 s15, 0xbfefdd0d
	s_mov_b32 s2, 0x75d4884
	;; [unrolled: 1-line block ×5, first 2 shown]
	s_wait_alu 0xfffe
	v_add_co_u32 v24, s0, s0, v4
	s_wait_alu 0xf1ff
	v_add_co_ci_u32_e64 v25, s0, s1, v5, s0
	s_mov_b32 s16, 0x6c9a05f6
	s_mov_b32 s17, 0xbfe9895b
	;; [unrolled: 1-line block ×3, first 2 shown]
	s_clause 0x1
	global_load_b128 v[4:7], v[24:25], off offset:1088
	global_load_b128 v[12:15], v[24:25], off offset:2176
	ds_store_b128 v176, v[0:3]
	ds_load_b128 v[0:3], v176 offset:1088
	ds_load_b128 v[16:19], v10 offset:14144
	global_load_b128 v[20:23], v[24:25], off offset:3264
	s_mov_b32 s13, 0xbfe348c8
	s_mov_b32 s20, 0xacd6c6b4
	;; [unrolled: 1-line block ×18, first 2 shown]
	s_wait_dscnt 0x0
	v_add_f64_e32 v[8:9], v[0:1], v[16:17]
	v_add_f64_e32 v[26:27], v[18:19], v[2:3]
	v_add_f64_e64 v[16:17], v[0:1], -v[16:17]
	v_add_f64_e64 v[0:1], v[2:3], -v[18:19]
	s_mov_b32 s36, s38
	s_mov_b32 s34, 0x2b2883cd
	;; [unrolled: 1-line block ×8, first 2 shown]
	s_wait_alu 0xfffe
	s_mov_b32 s40, s20
	s_mov_b32 s45, 0x3fe58eea
	;; [unrolled: 1-line block ×11, first 2 shown]
	s_mov_b32 s1, exec_lo
	s_wait_loadcnt 0x2
	s_delay_alu instid0(VALU_DEP_2) | instskip(NEXT) | instid1(VALU_DEP_2)
	v_fma_f64 v[2:3], v[16:17], v[6:7], v[8:9]
	v_fma_f64 v[18:19], v[26:27], v[6:7], v[0:1]
	v_fma_f64 v[8:9], -v[16:17], v[6:7], v[8:9]
	v_fma_f64 v[28:29], v[26:27], v[6:7], -v[0:1]
	s_delay_alu instid0(VALU_DEP_4) | instskip(NEXT) | instid1(VALU_DEP_4)
	v_fma_f64 v[0:1], -v[26:27], v[4:5], v[2:3]
	v_fma_f64 v[2:3], v[16:17], v[4:5], v[18:19]
	s_delay_alu instid0(VALU_DEP_4) | instskip(NEXT) | instid1(VALU_DEP_4)
	v_fma_f64 v[6:7], v[26:27], v[4:5], v[8:9]
	v_fma_f64 v[8:9], v[16:17], v[4:5], v[28:29]
	ds_store_b128 v176, v[0:3] offset:1088
	ds_store_b128 v10, v[6:9] offset:14144
	ds_load_b128 v[0:3], v176 offset:2176
	ds_load_b128 v[4:7], v10 offset:13056
	global_load_b128 v[16:19], v[24:25], off offset:4352
	s_wait_dscnt 0x0
	v_add_f64_e32 v[8:9], v[0:1], v[4:5]
	v_add_f64_e32 v[26:27], v[6:7], v[2:3]
	v_add_f64_e64 v[28:29], v[0:1], -v[4:5]
	v_add_f64_e64 v[0:1], v[2:3], -v[6:7]
	s_wait_loadcnt 0x2
	s_delay_alu instid0(VALU_DEP_2) | instskip(NEXT) | instid1(VALU_DEP_2)
	v_fma_f64 v[2:3], v[28:29], v[14:15], v[8:9]
	v_fma_f64 v[4:5], v[26:27], v[14:15], v[0:1]
	v_fma_f64 v[6:7], -v[28:29], v[14:15], v[8:9]
	v_fma_f64 v[8:9], v[26:27], v[14:15], -v[0:1]
	s_delay_alu instid0(VALU_DEP_4) | instskip(NEXT) | instid1(VALU_DEP_4)
	v_fma_f64 v[0:1], -v[26:27], v[12:13], v[2:3]
	v_fma_f64 v[2:3], v[28:29], v[12:13], v[4:5]
	s_delay_alu instid0(VALU_DEP_4) | instskip(NEXT) | instid1(VALU_DEP_4)
	v_fma_f64 v[4:5], v[26:27], v[12:13], v[6:7]
	v_fma_f64 v[6:7], v[28:29], v[12:13], v[8:9]
	ds_store_b128 v176, v[0:3] offset:2176
	ds_store_b128 v10, v[4:7] offset:13056
	ds_load_b128 v[0:3], v176 offset:3264
	ds_load_b128 v[4:7], v10 offset:11968
	global_load_b128 v[12:15], v[24:25], off offset:5440
	s_wait_dscnt 0x0
	v_add_f64_e32 v[8:9], v[0:1], v[4:5]
	v_add_f64_e32 v[26:27], v[6:7], v[2:3]
	v_add_f64_e64 v[28:29], v[0:1], -v[4:5]
	v_add_f64_e64 v[0:1], v[2:3], -v[6:7]
	;; [unrolled: 22-line block ×3, first 2 shown]
	s_wait_loadcnt 0x2
	s_delay_alu instid0(VALU_DEP_2) | instskip(NEXT) | instid1(VALU_DEP_2)
	v_fma_f64 v[2:3], v[26:27], v[18:19], v[8:9]
	v_fma_f64 v[4:5], v[24:25], v[18:19], v[0:1]
	v_fma_f64 v[6:7], -v[26:27], v[18:19], v[8:9]
	v_fma_f64 v[8:9], v[24:25], v[18:19], -v[0:1]
	s_delay_alu instid0(VALU_DEP_4) | instskip(NEXT) | instid1(VALU_DEP_4)
	v_fma_f64 v[0:1], -v[24:25], v[16:17], v[2:3]
	v_fma_f64 v[2:3], v[26:27], v[16:17], v[4:5]
	s_delay_alu instid0(VALU_DEP_4) | instskip(NEXT) | instid1(VALU_DEP_4)
	v_fma_f64 v[4:5], v[24:25], v[16:17], v[6:7]
	v_fma_f64 v[6:7], v[26:27], v[16:17], v[8:9]
	ds_store_b128 v176, v[0:3] offset:4352
	ds_store_b128 v10, v[4:7] offset:10880
	ds_load_b128 v[0:3], v176 offset:5440
	ds_load_b128 v[4:7], v10 offset:9792
	s_wait_dscnt 0x0
	v_add_f64_e32 v[8:9], v[0:1], v[4:5]
	v_add_f64_e32 v[16:17], v[6:7], v[2:3]
	v_add_f64_e64 v[18:19], v[0:1], -v[4:5]
	v_add_f64_e64 v[0:1], v[2:3], -v[6:7]
	s_wait_loadcnt 0x1
	s_delay_alu instid0(VALU_DEP_2) | instskip(NEXT) | instid1(VALU_DEP_2)
	v_fma_f64 v[2:3], v[18:19], v[14:15], v[8:9]
	v_fma_f64 v[4:5], v[16:17], v[14:15], v[0:1]
	v_fma_f64 v[6:7], -v[18:19], v[14:15], v[8:9]
	v_fma_f64 v[8:9], v[16:17], v[14:15], -v[0:1]
	s_delay_alu instid0(VALU_DEP_4) | instskip(NEXT) | instid1(VALU_DEP_4)
	v_fma_f64 v[0:1], -v[16:17], v[12:13], v[2:3]
	v_fma_f64 v[2:3], v[18:19], v[12:13], v[4:5]
	s_delay_alu instid0(VALU_DEP_4) | instskip(NEXT) | instid1(VALU_DEP_4)
	v_fma_f64 v[4:5], v[16:17], v[12:13], v[6:7]
	v_fma_f64 v[6:7], v[18:19], v[12:13], v[8:9]
	ds_store_b128 v176, v[0:3] offset:5440
	ds_store_b128 v10, v[4:7] offset:9792
	ds_load_b128 v[0:3], v176 offset:6528
	ds_load_b128 v[4:7], v10 offset:8704
	s_wait_dscnt 0x0
	v_add_f64_e32 v[8:9], v[0:1], v[4:5]
	v_add_f64_e32 v[12:13], v[6:7], v[2:3]
	v_add_f64_e64 v[14:15], v[0:1], -v[4:5]
	v_add_f64_e64 v[0:1], v[2:3], -v[6:7]
	s_wait_loadcnt 0x0
	s_delay_alu instid0(VALU_DEP_2) | instskip(NEXT) | instid1(VALU_DEP_2)
	v_fma_f64 v[2:3], v[14:15], v[22:23], v[8:9]
	v_fma_f64 v[4:5], v[12:13], v[22:23], v[0:1]
	v_fma_f64 v[6:7], -v[14:15], v[22:23], v[8:9]
	v_fma_f64 v[8:9], v[12:13], v[22:23], -v[0:1]
	s_delay_alu instid0(VALU_DEP_4) | instskip(NEXT) | instid1(VALU_DEP_4)
	v_fma_f64 v[0:1], -v[12:13], v[20:21], v[2:3]
	v_fma_f64 v[2:3], v[14:15], v[20:21], v[4:5]
	s_delay_alu instid0(VALU_DEP_4) | instskip(NEXT) | instid1(VALU_DEP_4)
	v_fma_f64 v[4:5], v[12:13], v[20:21], v[6:7]
	v_fma_f64 v[6:7], v[14:15], v[20:21], v[8:9]
	v_lshl_add_u32 v8, v84, 4, 0
	ds_store_b128 v176, v[0:3] offset:6528
	ds_store_b128 v10, v[4:7] offset:8704
	v_lshl_add_u32 v177, v11, 4, v8
	global_wb scope:SCOPE_SE
	s_wait_storecnt_dscnt 0x0
	s_barrier_signal -1
	s_barrier_wait -1
	global_inv scope:SCOPE_SE
	global_wb scope:SCOPE_SE
	s_barrier_signal -1
	s_barrier_wait -1
	global_inv scope:SCOPE_SE
	ds_load_b128 v[16:19], v177 offset:14336
	ds_load_b128 v[32:35], v177 offset:896
	ds_load_b128 v[20:23], v176
	ds_load_b128 v[24:27], v177 offset:13440
	ds_load_b128 v[36:39], v177 offset:1792
	;; [unrolled: 1-line block ×4, first 2 shown]
	s_wait_dscnt 0x5
	v_add_f64_e64 v[162:163], v[34:35], -v[18:19]
	v_add_f64_e32 v[160:161], v[32:33], v[16:17]
	s_wait_dscnt 0x2
	v_add_f64_e64 v[96:97], v[38:39], -v[26:27]
	v_add_f64_e64 v[92:93], v[36:37], -v[24:25]
	v_add_f64_e32 v[90:91], v[36:37], v[24:25]
	v_add_f64_e64 v[168:169], v[32:33], -v[16:17]
	v_add_f64_e32 v[170:171], v[34:35], v[18:19]
	v_add_f64_e32 v[100:101], v[38:39], v[26:27]
	s_wait_dscnt 0x0
	v_add_f64_e64 v[98:99], v[46:47], -v[30:31]
	v_add_f64_e32 v[94:95], v[44:45], v[28:29]
	v_add_f64_e64 v[102:103], v[44:45], -v[28:29]
	v_add_f64_e32 v[108:109], v[46:47], v[30:31]
	v_mul_f64_e32 v[0:1], s[10:11], v[162:163]
	v_mul_f64_e32 v[156:157], s[38:39], v[162:163]
	;; [unrolled: 1-line block ×21, first 2 shown]
	s_clause 0x2
	scratch_store_b64 off, v[2:3], off offset:20
	scratch_store_b64 off, v[4:5], off offset:36
	;; [unrolled: 1-line block ×3, first 2 shown]
	v_fma_f64 v[0:1], v[160:161], s[2:3], v[0:1]
	v_fma_f64 v[2:3], v[90:91], s[6:7], v[2:3]
	v_fma_f64 v[4:5], v[100:101], s[6:7], -v[4:5]
	v_fma_f64 v[6:7], v[90:91], s[12:13], v[182:183]
	v_fma_f64 v[8:9], v[100:101], s[12:13], -v[190:191]
	;; [unrolled: 2-line block ×4, first 2 shown]
	v_add_f64_e32 v[0:1], v[20:21], v[0:1]
	s_delay_alu instid0(VALU_DEP_1) | instskip(SKIP_3) | instid1(VALU_DEP_1)
	v_add_f64_e32 v[0:1], v[2:3], v[0:1]
	v_mul_f64_e32 v[2:3], s[10:11], v[168:169]
	scratch_store_b64 off, v[2:3], off offset:92 ; 8-byte Folded Spill
	v_fma_f64 v[2:3], v[170:171], s[2:3], -v[2:3]
	v_add_f64_e32 v[2:3], v[22:23], v[2:3]
	s_delay_alu instid0(VALU_DEP_1) | instskip(SKIP_3) | instid1(VALU_DEP_1)
	v_add_f64_e32 v[2:3], v[4:5], v[2:3]
	v_mul_f64_e32 v[4:5], s[16:17], v[98:99]
	scratch_store_b64 off, v[4:5], off offset:28 ; 8-byte Folded Spill
	v_fma_f64 v[4:5], v[94:95], s[12:13], v[4:5]
	v_add_f64_e32 v[0:1], v[4:5], v[0:1]
	v_mul_f64_e32 v[4:5], s[16:17], v[102:103]
	scratch_store_b64 off, v[4:5], off offset:44 ; 8-byte Folded Spill
	ds_load_b128 v[40:43], v177 offset:11648
	ds_load_b128 v[52:55], v177 offset:3584
	;; [unrolled: 1-line block ×4, first 2 shown]
	v_fma_f64 v[4:5], v[108:109], s[12:13], -v[4:5]
	s_wait_dscnt 0x2
	v_add_f64_e64 v[110:111], v[54:55], -v[42:43]
	v_add_f64_e32 v[104:105], v[52:53], v[40:41]
	v_add_f64_e64 v[106:107], v[52:53], -v[40:41]
	v_add_f64_e32 v[114:115], v[54:55], v[42:43]
	s_wait_dscnt 0x0
	v_add_f64_e64 v[118:119], v[58:59], -v[50:51]
	v_add_f64_e32 v[112:113], v[56:57], v[48:49]
	v_add_f64_e64 v[116:117], v[56:57], -v[48:49]
	v_add_f64_e32 v[120:121], v[58:59], v[50:51]
	v_add_f64_e32 v[2:3], v[4:5], v[2:3]
	v_mul_f64_e32 v[4:5], s[20:21], v[110:111]
	v_mul_f64_e32 v[188:189], s[28:29], v[110:111]
	;; [unrolled: 1-line block ×12, first 2 shown]
	scratch_store_b64 off, v[4:5], off offset:52 ; 8-byte Folded Spill
	v_fma_f64 v[4:5], v[104:105], s[18:19], v[4:5]
	s_delay_alu instid0(VALU_DEP_1) | instskip(SKIP_3) | instid1(VALU_DEP_1)
	v_add_f64_e32 v[0:1], v[4:5], v[0:1]
	v_mul_f64_e32 v[4:5], s[20:21], v[106:107]
	scratch_store_b64 off, v[4:5], off offset:60 ; 8-byte Folded Spill
	v_fma_f64 v[4:5], v[114:115], s[18:19], -v[4:5]
	v_add_f64_e32 v[2:3], v[4:5], v[2:3]
	v_mul_f64_e32 v[4:5], s[24:25], v[118:119]
	scratch_store_b64 off, v[4:5], off offset:68 ; 8-byte Folded Spill
	v_fma_f64 v[4:5], v[112:113], s[22:23], v[4:5]
	s_delay_alu instid0(VALU_DEP_1)
	v_add_f64_e32 v[0:1], v[4:5], v[0:1]
	v_mul_f64_e32 v[4:5], s[24:25], v[116:117]
	scratch_store_b64 off, v[4:5], off offset:76 ; 8-byte Folded Spill
	ds_load_b128 v[60:63], v177 offset:9856
	ds_load_b128 v[64:67], v177 offset:5376
	ds_load_b128 v[72:75], v177 offset:6272
	ds_load_b128 v[68:71], v177 offset:8960
	v_fma_f64 v[4:5], v[120:121], s[22:23], -v[4:5]
	s_wait_dscnt 0x2
	v_add_f64_e64 v[130:131], v[66:67], -v[62:63]
	v_add_f64_e32 v[122:123], v[64:65], v[60:61]
	v_add_f64_e64 v[124:125], v[64:65], -v[60:61]
	v_add_f64_e32 v[134:135], v[66:67], v[62:63]
	s_wait_dscnt 0x0
	v_add_f64_e64 v[132:133], v[74:75], -v[70:71]
	v_add_f64_e32 v[126:127], v[72:73], v[68:69]
	v_add_f64_e64 v[128:129], v[72:73], -v[68:69]
	v_add_f64_e32 v[138:139], v[74:75], v[70:71]
	v_add_f64_e32 v[2:3], v[4:5], v[2:3]
	v_mul_f64_e32 v[4:5], s[28:29], v[130:131]
	v_mul_f64_e32 v[234:235], s[54:55], v[130:131]
	;; [unrolled: 1-line block ×12, first 2 shown]
	scratch_store_b64 off, v[4:5], off offset:108 ; 8-byte Folded Spill
	v_fma_f64 v[4:5], v[122:123], s[26:27], v[4:5]
	s_delay_alu instid0(VALU_DEP_1) | instskip(SKIP_1) | instid1(VALU_DEP_1)
	v_add_f64_e32 v[0:1], v[4:5], v[0:1]
	v_fma_f64 v[4:5], v[134:135], s[26:27], -v[180:181]
	v_add_f64_e32 v[2:3], v[4:5], v[2:3]
	v_mul_f64_e32 v[4:5], s[36:37], v[132:133]
	scratch_store_b64 off, v[4:5], off offset:100 ; 8-byte Folded Spill
	v_fma_f64 v[4:5], v[126:127], s[34:35], v[4:5]
	s_delay_alu instid0(VALU_DEP_1)
	v_add_f64_e32 v[0:1], v[4:5], v[0:1]
	v_mul_f64_e32 v[4:5], s[36:37], v[128:129]
	scratch_store_b64 off, v[4:5], off offset:116 ; 8-byte Folded Spill
	ds_load_b128 v[80:83], v177 offset:7168
	ds_load_b128 v[76:79], v177 offset:8064
	v_fma_f64 v[4:5], v[138:139], s[34:35], -v[4:5]
	global_wb scope:SCOPE_SE
	s_wait_storecnt_dscnt 0x0
	s_barrier_signal -1
	s_barrier_wait -1
	global_inv scope:SCOPE_SE
	v_add_f64_e64 v[144:145], v[82:83], -v[78:79]
	v_add_f64_e32 v[136:137], v[80:81], v[76:77]
	v_add_f64_e64 v[140:141], v[80:81], -v[76:77]
	v_add_f64_e32 v[146:147], v[82:83], v[78:79]
	v_add_f64_e32 v[2:3], v[4:5], v[2:3]
	v_mul_f64_e32 v[184:185], s[46:47], v[144:145]
	v_mul_f64_e32 v[208:209], s[48:49], v[144:145]
	;; [unrolled: 1-line block ×6, first 2 shown]
	v_fma_f64 v[4:5], v[136:137], s[42:43], v[184:185]
	s_delay_alu instid0(VALU_DEP_1) | instskip(SKIP_1) | instid1(VALU_DEP_1)
	v_add_f64_e32 v[0:1], v[4:5], v[0:1]
	v_fma_f64 v[4:5], v[146:147], s[42:43], -v[194:195]
	v_add_f64_e32 v[2:3], v[4:5], v[2:3]
	v_fma_f64 v[4:5], v[160:161], s[34:35], v[156:157]
	s_delay_alu instid0(VALU_DEP_1) | instskip(NEXT) | instid1(VALU_DEP_1)
	v_add_f64_e32 v[4:5], v[20:21], v[4:5]
	v_add_f64_e32 v[4:5], v[6:7], v[4:5]
	v_fma_f64 v[6:7], v[170:171], s[34:35], -v[158:159]
	s_delay_alu instid0(VALU_DEP_1) | instskip(NEXT) | instid1(VALU_DEP_1)
	v_add_f64_e32 v[6:7], v[22:23], v[6:7]
	v_add_f64_e32 v[6:7], v[8:9], v[6:7]
	v_fma_f64 v[8:9], v[94:95], s[18:19], v[186:187]
	s_delay_alu instid0(VALU_DEP_1) | instskip(SKIP_1) | instid1(VALU_DEP_1)
	v_add_f64_e32 v[4:5], v[8:9], v[4:5]
	v_fma_f64 v[8:9], v[108:109], s[18:19], -v[196:197]
	v_add_f64_e32 v[6:7], v[8:9], v[6:7]
	v_fma_f64 v[8:9], v[104:105], s[26:27], v[188:189]
	s_delay_alu instid0(VALU_DEP_1) | instskip(SKIP_1) | instid1(VALU_DEP_1)
	v_add_f64_e32 v[4:5], v[8:9], v[4:5]
	v_fma_f64 v[8:9], v[114:115], s[26:27], -v[216:217]
	;; [unrolled: 5-line block ×6, first 2 shown]
	v_add_f64_e32 v[6:7], v[8:9], v[6:7]
	v_fma_f64 v[8:9], v[160:161], s[6:7], v[164:165]
	s_delay_alu instid0(VALU_DEP_1) | instskip(NEXT) | instid1(VALU_DEP_1)
	v_add_f64_e32 v[8:9], v[20:21], v[8:9]
	v_add_f64_e32 v[8:9], v[10:11], v[8:9]
	v_fma_f64 v[10:11], v[170:171], s[6:7], -v[166:167]
	s_delay_alu instid0(VALU_DEP_1) | instskip(NEXT) | instid1(VALU_DEP_1)
	v_add_f64_e32 v[10:11], v[22:23], v[10:11]
	v_add_f64_e32 v[10:11], v[12:13], v[10:11]
	v_fma_f64 v[12:13], v[94:95], s[26:27], v[198:199]
	s_delay_alu instid0(VALU_DEP_1) | instskip(SKIP_1) | instid1(VALU_DEP_1)
	v_add_f64_e32 v[8:9], v[12:13], v[8:9]
	v_fma_f64 v[12:13], v[108:109], s[26:27], -v[222:223]
	v_add_f64_e32 v[10:11], v[12:13], v[10:11]
	v_fma_f64 v[12:13], v[104:105], s[42:43], v[202:203]
	s_delay_alu instid0(VALU_DEP_1) | instskip(SKIP_1) | instid1(VALU_DEP_1)
	v_add_f64_e32 v[8:9], v[12:13], v[8:9]
	v_fma_f64 v[12:13], v[114:115], s[42:43], -v[240:241]
	;; [unrolled: 5-line block ×6, first 2 shown]
	v_add_f64_e32 v[10:11], v[12:13], v[10:11]
	v_fma_f64 v[12:13], v[160:161], s[26:27], v[172:173]
	s_delay_alu instid0(VALU_DEP_1) | instskip(NEXT) | instid1(VALU_DEP_1)
	v_add_f64_e32 v[12:13], v[20:21], v[12:13]
	v_add_f64_e32 v[12:13], v[14:15], v[12:13]
	v_fma_f64 v[14:15], v[170:171], s[26:27], -v[174:175]
	s_delay_alu instid0(VALU_DEP_1) | instskip(NEXT) | instid1(VALU_DEP_1)
	v_add_f64_e32 v[14:15], v[22:23], v[14:15]
	v_add_f64_e32 v[14:15], v[142:143], v[14:15]
	v_fma_f64 v[142:143], v[94:95], s[2:3], v[218:219]
	s_delay_alu instid0(VALU_DEP_1) | instskip(SKIP_1) | instid1(VALU_DEP_1)
	v_add_f64_e32 v[12:13], v[142:143], v[12:13]
	v_fma_f64 v[142:143], v[108:109], s[2:3], -v[242:243]
	v_add_f64_e32 v[14:15], v[142:143], v[14:15]
	v_fma_f64 v[142:143], v[104:105], s[34:35], v[224:225]
	s_delay_alu instid0(VALU_DEP_1) | instskip(SKIP_1) | instid1(VALU_DEP_1)
	v_add_f64_e32 v[12:13], v[142:143], v[12:13]
	v_fma_f64 v[142:143], v[114:115], s[34:35], -v[250:251]
	v_add_f64_e32 v[14:15], v[142:143], v[14:15]
	v_fma_f64 v[142:143], v[112:113], s[18:19], v[232:233]
	s_delay_alu instid0(VALU_DEP_1) | instskip(SKIP_1) | instid1(VALU_DEP_1)
	v_add_f64_e32 v[12:13], v[142:143], v[12:13]
	v_mul_f64_e32 v[142:143], s[20:21], v[116:117]
	v_fma_f64 v[148:149], v[120:121], s[18:19], -v[142:143]
	s_delay_alu instid0(VALU_DEP_1) | instskip(SKIP_1) | instid1(VALU_DEP_1)
	v_add_f64_e32 v[14:15], v[148:149], v[14:15]
	v_fma_f64 v[148:149], v[122:123], s[6:7], v[236:237]
	v_add_f64_e32 v[12:13], v[148:149], v[12:13]
	v_fma_f64 v[148:149], v[134:135], s[6:7], -v[152:153]
	s_delay_alu instid0(VALU_DEP_1) | instskip(SKIP_1) | instid1(VALU_DEP_1)
	v_add_f64_e32 v[14:15], v[148:149], v[14:15]
	v_mul_f64_e32 v[148:149], s[54:55], v[132:133]
	v_fma_f64 v[154:155], v[126:127], s[42:43], v[148:149]
	s_delay_alu instid0(VALU_DEP_1) | instskip(SKIP_1) | instid1(VALU_DEP_1)
	v_add_f64_e32 v[12:13], v[154:155], v[12:13]
	v_mul_f64_e32 v[154:155], s[54:55], v[128:129]
	v_fma_f64 v[246:247], v[138:139], s[42:43], -v[154:155]
	s_delay_alu instid0(VALU_DEP_1) | instskip(SKIP_1) | instid1(VALU_DEP_1)
	v_add_f64_e32 v[14:15], v[246:247], v[14:15]
	v_mul_f64_e32 v[246:247], s[16:17], v[144:145]
	v_fma_f64 v[254:255], v[136:137], s[12:13], v[246:247]
	s_delay_alu instid0(VALU_DEP_1) | instskip(SKIP_1) | instid1(VALU_DEP_1)
	v_add_f64_e32 v[12:13], v[254:255], v[12:13]
	v_mul_f64_e32 v[254:255], s[16:17], v[140:141]
	v_fma_f64 v[178:179], v[146:147], s[12:13], -v[254:255]
	s_delay_alu instid0(VALU_DEP_1)
	v_add_f64_e32 v[14:15], v[178:179], v[14:15]
	v_cmpx_gt_u32_e32 56, v84
	s_cbranch_execz .LBB0_18
; %bb.17:
	v_add_f64_e32 v[32:33], v[20:21], v[32:33]
	v_add_f64_e32 v[34:35], v[22:23], v[34:35]
	s_delay_alu instid0(VALU_DEP_2) | instskip(NEXT) | instid1(VALU_DEP_2)
	v_add_f64_e32 v[32:33], v[32:33], v[36:37]
	v_add_f64_e32 v[34:35], v[34:35], v[38:39]
	scratch_load_b64 v[38:39], off, off offset:92 th:TH_LOAD_LU ; 8-byte Folded Reload
	v_mul_f64_e32 v[36:37], s[2:3], v[170:171]
	v_add_f64_e32 v[32:33], v[32:33], v[44:45]
	v_add_f64_e32 v[34:35], v[34:35], v[46:47]
	v_mul_f64_e32 v[44:45], s[12:13], v[170:171]
	v_mul_f64_e32 v[46:47], s[42:43], v[170:171]
	s_delay_alu instid0(VALU_DEP_4) | instskip(NEXT) | instid1(VALU_DEP_4)
	v_add_f64_e32 v[32:33], v[32:33], v[52:53]
	v_add_f64_e32 v[34:35], v[34:35], v[54:55]
	s_delay_alu instid0(VALU_DEP_4)
	v_fma_f64 v[52:53], v[168:169], s[50:51], v[44:45]
	v_fma_f64 v[44:45], v[168:169], s[16:17], v[44:45]
	;; [unrolled: 1-line block ×4, first 2 shown]
	v_add_f64_e32 v[32:33], v[32:33], v[56:57]
	v_add_f64_e32 v[34:35], v[34:35], v[58:59]
	v_mul_f64_e32 v[56:57], s[20:21], v[162:163]
	v_mul_f64_e32 v[58:59], s[48:49], v[162:163]
	s_delay_alu instid0(VALU_DEP_4) | instskip(NEXT) | instid1(VALU_DEP_4)
	v_add_f64_e32 v[32:33], v[32:33], v[64:65]
	v_add_f64_e32 v[34:35], v[34:35], v[66:67]
	s_delay_alu instid0(VALU_DEP_4)
	v_fma_f64 v[64:65], v[160:161], s[18:19], v[56:57]
	v_fma_f64 v[56:57], v[160:161], s[18:19], -v[56:57]
	v_fma_f64 v[66:67], v[160:161], s[22:23], v[58:59]
	v_fma_f64 v[58:59], v[160:161], s[22:23], -v[58:59]
	v_add_f64_e32 v[32:33], v[32:33], v[72:73]
	v_add_f64_e32 v[34:35], v[34:35], v[74:75]
	;; [unrolled: 1-line block ×10, first 2 shown]
	s_delay_alu instid0(VALU_DEP_2) | instskip(NEXT) | instid1(VALU_DEP_2)
	v_add_f64_e32 v[32:33], v[32:33], v[76:77]
	v_add_f64_e32 v[34:35], v[34:35], v[78:79]
	s_delay_alu instid0(VALU_DEP_2) | instskip(NEXT) | instid1(VALU_DEP_2)
	v_add_f64_e32 v[32:33], v[32:33], v[68:69]
	v_add_f64_e32 v[34:35], v[34:35], v[70:71]
	;; [unrolled: 3-line block ×3, first 2 shown]
	v_mul_f64_e32 v[60:61], s[16:17], v[162:163]
	v_mul_f64_e32 v[62:63], s[54:55], v[162:163]
	s_delay_alu instid0(VALU_DEP_4) | instskip(NEXT) | instid1(VALU_DEP_4)
	v_add_f64_e32 v[32:33], v[32:33], v[48:49]
	v_add_f64_e32 v[34:35], v[34:35], v[50:51]
	s_delay_alu instid0(VALU_DEP_4)
	v_fma_f64 v[68:69], v[160:161], s[12:13], v[60:61]
	v_fma_f64 v[60:61], v[160:161], s[12:13], -v[60:61]
	v_fma_f64 v[70:71], v[160:161], s[42:43], v[62:63]
	v_fma_f64 v[62:63], v[160:161], s[42:43], -v[62:63]
	v_add_f64_e32 v[32:33], v[32:33], v[40:41]
	scratch_load_b64 v[40:41], off, off offset:84 th:TH_LOAD_LU ; 8-byte Folded Reload
	v_add_f64_e32 v[34:35], v[34:35], v[42:43]
	s_wait_loadcnt 0x1
	v_add_f64_e32 v[36:37], v[38:39], v[36:37]
	v_mul_f64_e32 v[38:39], s[2:3], v[160:161]
	v_mul_f64_e32 v[42:43], s[22:23], v[170:171]
	v_add_f64_e32 v[68:69], v[20:21], v[68:69]
	v_add_f64_e32 v[60:61], v[20:21], v[60:61]
	;; [unrolled: 1-line block ×5, first 2 shown]
	v_mul_f64_e32 v[32:33], s[34:35], v[170:171]
	v_add_f64_e32 v[30:31], v[34:35], v[30:31]
	v_mul_f64_e32 v[34:35], s[34:35], v[160:161]
	v_add_f64_e32 v[36:37], v[22:23], v[36:37]
	v_fma_f64 v[50:51], v[168:169], s[24:25], v[42:43]
	v_fma_f64 v[42:43], v[168:169], s[48:49], v[42:43]
	v_add_f64_e32 v[24:25], v[28:29], v[24:25]
	v_mul_f64_e32 v[28:29], s[6:7], v[170:171]
	v_add_f64_e32 v[26:27], v[30:31], v[26:27]
	v_mul_f64_e32 v[30:31], s[6:7], v[160:161]
	v_add_f64_e64 v[34:35], v[34:35], -v[156:157]
	v_add_f64_e32 v[32:33], v[158:159], v[32:33]
	v_add_f64_e32 v[50:51], v[22:23], v[50:51]
	;; [unrolled: 1-line block ×6, first 2 shown]
	v_mul_f64_e32 v[24:25], s[26:27], v[170:171]
	v_add_f64_e32 v[18:19], v[26:27], v[18:19]
	v_mul_f64_e32 v[26:27], s[26:27], v[160:161]
	v_add_f64_e32 v[28:29], v[166:167], v[28:29]
	v_add_f64_e64 v[30:31], v[30:31], -v[164:165]
	v_add_f64_e32 v[82:83], v[20:21], v[34:35]
	v_add_f64_e32 v[80:81], v[22:23], v[32:33]
	v_mul_f64_e32 v[166:167], s[6:7], v[146:147]
	v_add_f64_e32 v[24:25], v[174:175], v[24:25]
	v_add_f64_e64 v[26:27], v[26:27], -v[172:173]
	v_add_f64_e32 v[44:45], v[22:23], v[28:29]
	v_add_f64_e32 v[78:79], v[20:21], v[30:31]
	v_mul_f64_e32 v[28:29], s[22:23], v[108:109]
	v_add_f64_e32 v[74:75], v[22:23], v[24:25]
	v_mul_f64_e32 v[24:25], s[42:43], v[100:101]
	v_add_f64_e32 v[76:77], v[20:21], v[26:27]
	v_mul_f64_e32 v[26:27], s[46:47], v[96:97]
	v_fma_f64 v[30:31], v[102:103], s[24:25], v[28:29]
	v_fma_f64 v[28:29], v[102:103], s[48:49], v[28:29]
	s_wait_loadcnt 0x0
	v_add_f64_e64 v[38:39], v[38:39], -v[40:41]
	v_mul_f64_e32 v[40:41], s[18:19], v[170:171]
	s_delay_alu instid0(VALU_DEP_2) | instskip(NEXT) | instid1(VALU_DEP_2)
	v_add_f64_e32 v[38:39], v[20:21], v[38:39]
	v_fma_f64 v[48:49], v[168:169], s[40:41], v[40:41]
	v_fma_f64 v[20:21], v[92:93], s[54:55], v[24:25]
	;; [unrolled: 1-line block ×4, first 2 shown]
	v_mul_f64_e32 v[168:169], s[52:53], v[144:145]
	v_add_f64_e32 v[48:49], v[22:23], v[48:49]
	s_delay_alu instid0(VALU_DEP_4) | instskip(SKIP_2) | instid1(VALU_DEP_4)
	v_add_f64_e32 v[40:41], v[22:23], v[40:41]
	v_fma_f64 v[22:23], v[90:91], s[42:43], v[26:27]
	v_fma_f64 v[26:27], v[90:91], s[42:43], -v[26:27]
	v_add_f64_e32 v[20:21], v[20:21], v[48:49]
	s_delay_alu instid0(VALU_DEP_4) | instskip(NEXT) | instid1(VALU_DEP_4)
	v_add_f64_e32 v[24:25], v[24:25], v[40:41]
	v_add_f64_e32 v[22:23], v[22:23], v[64:65]
	s_delay_alu instid0(VALU_DEP_4) | instskip(SKIP_4) | instid1(VALU_DEP_2)
	v_add_f64_e32 v[26:27], v[26:27], v[56:57]
	v_mul_f64_e32 v[40:41], s[6:7], v[108:109]
	v_add_f64_e32 v[20:21], v[30:31], v[20:21]
	v_mul_f64_e32 v[30:31], s[48:49], v[98:99]
	v_add_f64_e32 v[24:25], v[28:29], v[24:25]
	v_fma_f64 v[32:33], v[94:95], s[22:23], v[30:31]
	v_fma_f64 v[28:29], v[94:95], s[22:23], -v[30:31]
	v_fma_f64 v[30:31], v[136:137], s[6:7], -v[168:169]
	s_delay_alu instid0(VALU_DEP_3) | instskip(SKIP_1) | instid1(VALU_DEP_4)
	v_add_f64_e32 v[22:23], v[32:33], v[22:23]
	v_mul_f64_e32 v[32:33], s[2:3], v[114:115]
	v_add_f64_e32 v[26:27], v[28:29], v[26:27]
	s_delay_alu instid0(VALU_DEP_2) | instskip(SKIP_2) | instid1(VALU_DEP_3)
	v_fma_f64 v[34:35], v[106:107], s[10:11], v[32:33]
	v_fma_f64 v[28:29], v[106:107], s[44:45], v[32:33]
	v_mul_f64_e32 v[32:33], s[34:35], v[100:101]
	v_add_f64_e32 v[20:21], v[34:35], v[20:21]
	v_mul_f64_e32 v[34:35], s[44:45], v[110:111]
	s_delay_alu instid0(VALU_DEP_4) | instskip(NEXT) | instid1(VALU_DEP_2)
	v_add_f64_e32 v[24:25], v[28:29], v[24:25]
	v_fma_f64 v[46:47], v[104:105], s[2:3], v[34:35]
	v_fma_f64 v[28:29], v[104:105], s[2:3], -v[34:35]
	v_mul_f64_e32 v[34:35], s[36:37], v[96:97]
	s_delay_alu instid0(VALU_DEP_3) | instskip(SKIP_1) | instid1(VALU_DEP_4)
	v_add_f64_e32 v[22:23], v[46:47], v[22:23]
	v_mul_f64_e32 v[46:47], s[12:13], v[120:121]
	v_add_f64_e32 v[26:27], v[28:29], v[26:27]
	s_delay_alu instid0(VALU_DEP_2) | instskip(SKIP_3) | instid1(VALU_DEP_4)
	v_fma_f64 v[48:49], v[116:117], s[50:51], v[46:47]
	v_fma_f64 v[28:29], v[116:117], s[16:17], v[46:47]
	;; [unrolled: 1-line block ×4, first 2 shown]
	v_add_f64_e32 v[20:21], v[48:49], v[20:21]
	v_mul_f64_e32 v[48:49], s[16:17], v[118:119]
	v_add_f64_e32 v[24:25], v[28:29], v[24:25]
	s_delay_alu instid0(VALU_DEP_2) | instskip(SKIP_1) | instid1(VALU_DEP_2)
	v_fma_f64 v[54:55], v[112:113], s[12:13], v[48:49]
	v_fma_f64 v[28:29], v[112:113], s[12:13], -v[48:49]
	v_add_f64_e32 v[22:23], v[54:55], v[22:23]
	v_mul_f64_e32 v[54:55], s[34:35], v[134:135]
	s_delay_alu instid0(VALU_DEP_3) | instskip(NEXT) | instid1(VALU_DEP_2)
	v_add_f64_e32 v[26:27], v[28:29], v[26:27]
	v_fma_f64 v[64:65], v[124:125], s[38:39], v[54:55]
	v_fma_f64 v[28:29], v[124:125], s[36:37], v[54:55]
	s_delay_alu instid0(VALU_DEP_2) | instskip(SKIP_1) | instid1(VALU_DEP_3)
	v_add_f64_e32 v[20:21], v[64:65], v[20:21]
	v_mul_f64_e32 v[64:65], s[36:37], v[130:131]
	v_add_f64_e32 v[24:25], v[28:29], v[24:25]
	s_delay_alu instid0(VALU_DEP_2) | instskip(SKIP_1) | instid1(VALU_DEP_2)
	v_fma_f64 v[160:161], v[122:123], s[34:35], v[64:65]
	v_fma_f64 v[28:29], v[122:123], s[34:35], -v[64:65]
	v_add_f64_e32 v[22:23], v[160:161], v[22:23]
	v_mul_f64_e32 v[160:161], s[26:27], v[138:139]
	s_delay_alu instid0(VALU_DEP_3) | instskip(NEXT) | instid1(VALU_DEP_2)
	v_add_f64_e32 v[26:27], v[28:29], v[26:27]
	v_fma_f64 v[162:163], v[128:129], s[28:29], v[160:161]
	v_fma_f64 v[28:29], v[128:129], s[30:31], v[160:161]
	s_delay_alu instid0(VALU_DEP_2) | instskip(SKIP_1) | instid1(VALU_DEP_3)
	v_add_f64_e32 v[20:21], v[162:163], v[20:21]
	v_mul_f64_e32 v[162:163], s[30:31], v[132:133]
	v_add_f64_e32 v[24:25], v[28:29], v[24:25]
	s_delay_alu instid0(VALU_DEP_2) | instskip(SKIP_1) | instid1(VALU_DEP_2)
	v_fma_f64 v[28:29], v[126:127], s[26:27], -v[162:163]
	v_fma_f64 v[164:165], v[126:127], s[26:27], v[162:163]
	v_add_f64_e32 v[28:29], v[28:29], v[26:27]
	v_fma_f64 v[26:27], v[140:141], s[52:53], v[166:167]
	s_delay_alu instid0(VALU_DEP_3) | instskip(SKIP_2) | instid1(VALU_DEP_4)
	v_add_f64_e32 v[164:165], v[164:165], v[22:23]
	v_fma_f64 v[22:23], v[140:141], s[14:15], v[166:167]
	v_mul_f64_e32 v[166:167], s[26:27], v[146:147]
	v_add_f64_e32 v[26:27], v[26:27], v[24:25]
	v_add_f64_e32 v[24:25], v[30:31], v[28:29]
	v_fma_f64 v[28:29], v[92:93], s[38:39], v[32:33]
	v_fma_f64 v[30:31], v[90:91], s[34:35], v[34:35]
	v_fma_f64 v[32:33], v[92:93], s[36:37], v[32:33]
	v_fma_f64 v[34:35], v[90:91], s[34:35], -v[34:35]
	v_add_f64_e32 v[22:23], v[22:23], v[20:21]
	v_fma_f64 v[20:21], v[136:137], s[6:7], v[168:169]
	v_mul_f64_e32 v[168:169], s[30:31], v[144:145]
	v_add_f64_e32 v[28:29], v[28:29], v[50:51]
	v_add_f64_e32 v[30:31], v[30:31], v[66:67]
	;; [unrolled: 1-line block ×5, first 2 shown]
	v_fma_f64 v[42:43], v[136:137], s[26:27], -v[168:169]
	v_add_f64_e32 v[28:29], v[46:47], v[28:29]
	v_mul_f64_e32 v[46:47], s[14:15], v[98:99]
	v_add_f64_e32 v[32:33], v[40:41], v[32:33]
	s_delay_alu instid0(VALU_DEP_2)
	v_fma_f64 v[48:49], v[94:95], s[6:7], v[46:47]
	v_fma_f64 v[40:41], v[94:95], s[6:7], -v[46:47]
	scratch_load_b64 v[46:47], off, off offset:76 th:TH_LOAD_LU ; 8-byte Folded Reload
	v_add_f64_e32 v[30:31], v[48:49], v[30:31]
	v_mul_f64_e32 v[48:49], s[12:13], v[114:115]
	v_add_f64_e32 v[34:35], v[40:41], v[34:35]
	s_delay_alu instid0(VALU_DEP_2)
	v_fma_f64 v[50:51], v[106:107], s[16:17], v[48:49]
	v_fma_f64 v[40:41], v[106:107], s[50:51], v[48:49]
	scratch_load_b64 v[48:49], off, off offset:60 th:TH_LOAD_LU ; 8-byte Folded Reload
	v_add_f64_e32 v[28:29], v[50:51], v[28:29]
	v_mul_f64_e32 v[50:51], s[50:51], v[110:111]
	v_add_f64_e32 v[32:33], v[40:41], v[32:33]
	s_delay_alu instid0(VALU_DEP_2)
	v_fma_f64 v[54:55], v[104:105], s[12:13], v[50:51]
	v_fma_f64 v[40:41], v[104:105], s[12:13], -v[50:51]
	scratch_load_b64 v[50:51], off, off offset:44 th:TH_LOAD_LU ; 8-byte Folded Reload
	v_add_f64_e32 v[30:31], v[54:55], v[30:31]
	v_mul_f64_e32 v[54:55], s[42:43], v[120:121]
	v_add_f64_e32 v[34:35], v[40:41], v[34:35]
	s_delay_alu instid0(VALU_DEP_2)
	v_fma_f64 v[56:57], v[116:117], s[46:47], v[54:55]
	v_fma_f64 v[40:41], v[116:117], s[54:55], v[54:55]
	scratch_load_b64 v[54:55], off, off offset:36 th:TH_LOAD_LU ; 8-byte Folded Reload
	v_add_f64_e32 v[28:29], v[56:57], v[28:29]
	v_mul_f64_e32 v[56:57], s[54:55], v[118:119]
	v_add_f64_e32 v[32:33], v[40:41], v[32:33]
	s_delay_alu instid0(VALU_DEP_2)
	v_fma_f64 v[64:65], v[112:113], s[42:43], v[56:57]
	v_fma_f64 v[40:41], v[112:113], s[42:43], -v[56:57]
	s_clause 0x1
	scratch_load_b64 v[56:57], off, off offset:108 th:TH_LOAD_LU
	scratch_load_b64 v[58:59], off, off offset:68 th:TH_LOAD_LU
	v_add_f64_e32 v[30:31], v[64:65], v[30:31]
	v_mul_f64_e32 v[64:65], s[18:19], v[134:135]
	v_add_f64_e32 v[34:35], v[40:41], v[34:35]
	s_delay_alu instid0(VALU_DEP_2)
	v_fma_f64 v[66:67], v[124:125], s[40:41], v[64:65]
	v_fma_f64 v[40:41], v[124:125], s[20:21], v[64:65]
	scratch_load_b64 v[64:65], off, off offset:20 th:TH_LOAD_LU ; 8-byte Folded Reload
	v_add_f64_e32 v[28:29], v[66:67], v[28:29]
	v_mul_f64_e32 v[66:67], s[20:21], v[130:131]
	v_add_f64_e32 v[32:33], v[40:41], v[32:33]
	s_delay_alu instid0(VALU_DEP_2)
	v_fma_f64 v[160:161], v[122:123], s[18:19], v[66:67]
	v_fma_f64 v[40:41], v[122:123], s[18:19], -v[66:67]
	scratch_load_b64 v[66:67], off, off offset:28 th:TH_LOAD_LU ; 8-byte Folded Reload
	v_add_f64_e32 v[30:31], v[160:161], v[30:31]
	v_mul_f64_e32 v[160:161], s[2:3], v[138:139]
	v_add_f64_e32 v[34:35], v[40:41], v[34:35]
	s_delay_alu instid0(VALU_DEP_2) | instskip(SKIP_1) | instid1(VALU_DEP_2)
	v_fma_f64 v[162:163], v[128:129], s[10:11], v[160:161]
	v_fma_f64 v[40:41], v[128:129], s[44:45], v[160:161]
	v_add_f64_e32 v[28:29], v[162:163], v[28:29]
	v_mul_f64_e32 v[162:163], s[44:45], v[132:133]
	s_delay_alu instid0(VALU_DEP_3) | instskip(NEXT) | instid1(VALU_DEP_2)
	v_add_f64_e32 v[32:33], v[40:41], v[32:33]
	v_fma_f64 v[40:41], v[126:127], s[2:3], -v[162:163]
	v_fma_f64 v[164:165], v[126:127], s[2:3], v[162:163]
	s_delay_alu instid0(VALU_DEP_2) | instskip(SKIP_1) | instid1(VALU_DEP_3)
	v_add_f64_e32 v[40:41], v[40:41], v[34:35]
	v_fma_f64 v[34:35], v[140:141], s[30:31], v[166:167]
	v_add_f64_e32 v[164:165], v[164:165], v[30:31]
	v_fma_f64 v[30:31], v[140:141], s[28:29], v[166:167]
	s_delay_alu instid0(VALU_DEP_3)
	v_add_f64_e32 v[34:35], v[34:35], v[32:33]
	v_add_f64_e32 v[32:33], v[42:43], v[40:41]
	v_mul_f64_e32 v[42:43], s[22:23], v[120:121]
	v_mul_f64_e32 v[40:41], s[26:27], v[134:135]
	v_add_f64_e32 v[30:31], v[30:31], v[28:29]
	v_fma_f64 v[28:29], v[136:137], s[26:27], v[168:169]
	s_wait_loadcnt 0x7
	s_delay_alu instid0(VALU_DEP_4) | instskip(SKIP_2) | instid1(VALU_DEP_4)
	v_add_f64_e32 v[42:43], v[46:47], v[42:43]
	v_mul_f64_e32 v[46:47], s[18:19], v[114:115]
	v_add_f64_e32 v[40:41], v[180:181], v[40:41]
	v_add_f64_e32 v[28:29], v[28:29], v[164:165]
	s_wait_loadcnt 0x6
	s_delay_alu instid0(VALU_DEP_3) | instskip(SKIP_2) | instid1(VALU_DEP_1)
	v_add_f64_e32 v[46:47], v[48:49], v[46:47]
	v_mul_f64_e32 v[48:49], s[12:13], v[108:109]
	s_wait_loadcnt 0x5
	v_add_f64_e32 v[48:49], v[50:51], v[48:49]
	v_mul_f64_e32 v[50:51], s[6:7], v[100:101]
	s_wait_loadcnt 0x4
	s_delay_alu instid0(VALU_DEP_1) | instskip(SKIP_1) | instid1(VALU_DEP_2)
	v_add_f64_e32 v[50:51], v[54:55], v[50:51]
	v_mul_f64_e32 v[54:55], s[26:27], v[122:123]
	v_add_f64_e32 v[36:37], v[50:51], v[36:37]
	s_wait_loadcnt 0x3
	s_delay_alu instid0(VALU_DEP_2) | instskip(SKIP_2) | instid1(VALU_DEP_4)
	v_add_f64_e64 v[54:55], v[54:55], -v[56:57]
	v_mul_f64_e32 v[56:57], s[22:23], v[112:113]
	v_mul_f64_e32 v[50:51], s[18:19], v[104:105]
	v_add_f64_e32 v[36:37], v[48:49], v[36:37]
	v_mul_f64_e32 v[48:49], s[34:35], v[138:139]
	s_wait_loadcnt 0x2
	s_delay_alu instid0(VALU_DEP_4) | instskip(SKIP_1) | instid1(VALU_DEP_4)
	v_add_f64_e64 v[56:57], v[56:57], -v[58:59]
	v_mul_f64_e32 v[58:59], s[6:7], v[90:91]
	v_add_f64_e32 v[36:37], v[46:47], v[36:37]
	v_mul_f64_e32 v[46:47], s[34:35], v[126:127]
	s_wait_loadcnt 0x1
	s_delay_alu instid0(VALU_DEP_3) | instskip(SKIP_1) | instid1(VALU_DEP_4)
	v_add_f64_e64 v[58:59], v[58:59], -v[64:65]
	v_mul_f64_e32 v[64:65], s[12:13], v[94:95]
	v_add_f64_e32 v[36:37], v[42:43], v[36:37]
	v_mul_f64_e32 v[42:43], s[42:43], v[146:147]
	s_delay_alu instid0(VALU_DEP_4)
	v_add_f64_e32 v[38:39], v[58:59], v[38:39]
	scratch_load_b64 v[58:59], off, off offset:52 th:TH_LOAD_LU ; 8-byte Folded Reload
	s_wait_loadcnt 0x1
	v_add_f64_e64 v[64:65], v[64:65], -v[66:67]
	v_mul_f64_e32 v[66:67], s[26:27], v[104:105]
	v_add_f64_e32 v[36:37], v[40:41], v[36:37]
	v_mul_f64_e32 v[40:41], s[42:43], v[136:137]
	v_add_f64_e32 v[42:43], v[194:195], v[42:43]
	v_add_f64_e32 v[38:39], v[64:65], v[38:39]
	v_mul_f64_e32 v[64:65], s[18:19], v[94:95]
	v_add_f64_e64 v[66:67], v[66:67], -v[188:189]
	v_add_f64_e64 v[40:41], v[40:41], -v[184:185]
	s_delay_alu instid0(VALU_DEP_3)
	v_add_f64_e64 v[64:65], v[64:65], -v[186:187]
	s_wait_loadcnt 0x0
	v_add_f64_e64 v[50:51], v[50:51], -v[58:59]
	scratch_load_b64 v[58:59], off, off offset:116 th:TH_LOAD_LU ; 8-byte Folded Reload
	v_add_f64_e32 v[38:39], v[50:51], v[38:39]
	scratch_load_b64 v[50:51], off, off offset:100 th:TH_LOAD_LU ; 8-byte Folded Reload
	v_add_f64_e32 v[38:39], v[56:57], v[38:39]
	v_mul_f64_e32 v[56:57], s[2:3], v[112:113]
	s_delay_alu instid0(VALU_DEP_2) | instskip(SKIP_1) | instid1(VALU_DEP_3)
	v_add_f64_e32 v[38:39], v[54:55], v[38:39]
	v_mul_f64_e32 v[54:55], s[42:43], v[122:123]
	v_add_f64_e64 v[56:57], v[56:57], -v[212:213]
	s_delay_alu instid0(VALU_DEP_2)
	v_add_f64_e64 v[54:55], v[54:55], -v[234:235]
	s_wait_loadcnt 0x1
	v_add_f64_e32 v[48:49], v[58:59], v[48:49]
	v_mul_f64_e32 v[58:59], s[12:13], v[90:91]
	s_wait_loadcnt 0x0
	v_add_f64_e64 v[46:47], v[46:47], -v[50:51]
	v_mul_f64_e32 v[50:51], s[12:13], v[100:101]
	s_delay_alu instid0(VALU_DEP_4)
	v_add_f64_e32 v[36:37], v[48:49], v[36:37]
	v_mul_f64_e32 v[48:49], s[18:19], v[108:109]
	v_add_f64_e64 v[58:59], v[58:59], -v[182:183]
	v_add_f64_e32 v[46:47], v[46:47], v[38:39]
	v_add_f64_e32 v[50:51], v[190:191], v[50:51]
	;; [unrolled: 1-line block ×4, first 2 shown]
	v_mul_f64_e32 v[42:43], s[2:3], v[120:121]
	v_add_f64_e32 v[58:59], v[58:59], v[82:83]
	v_add_f64_e32 v[36:37], v[40:41], v[46:47]
	v_mul_f64_e32 v[46:47], s[26:27], v[114:115]
	v_add_f64_e32 v[50:51], v[50:51], v[80:81]
	v_mul_f64_e32 v[40:41], s[42:43], v[134:135]
	;; [unrolled: 2-line block ×3, first 2 shown]
	v_add_f64_e32 v[46:47], v[216:217], v[46:47]
	v_add_f64_e32 v[48:49], v[48:49], v[50:51]
	;; [unrolled: 1-line block ×4, first 2 shown]
	v_mul_f64_e32 v[58:59], s[6:7], v[138:139]
	v_add_f64_e64 v[80:81], v[80:81], -v[198:199]
	v_mul_f64_e32 v[64:65], s[12:13], v[126:127]
	v_add_f64_e32 v[46:47], v[46:47], v[48:49]
	v_add_f64_e32 v[48:49], v[66:67], v[50:51]
	;; [unrolled: 1-line block ×3, first 2 shown]
	v_mul_f64_e32 v[50:51], s[6:7], v[126:127]
	v_mul_f64_e32 v[66:67], s[18:19], v[90:91]
	v_add_f64_e64 v[64:65], v[64:65], -v[85:86]
	v_add_f64_e32 v[42:43], v[42:43], v[46:47]
	v_add_f64_e32 v[46:47], v[56:57], v[48:49]
	v_mul_f64_e32 v[48:49], s[22:23], v[146:147]
	v_add_f64_e64 v[50:51], v[50:51], -v[206:207]
	v_mul_f64_e32 v[56:57], s[26:27], v[108:109]
	v_add_f64_e64 v[66:67], v[66:67], -v[192:193]
	v_add_f64_e32 v[40:41], v[40:41], v[42:43]
	v_add_f64_e32 v[42:43], v[54:55], v[46:47]
	v_mul_f64_e32 v[46:47], s[22:23], v[136:137]
	v_add_f64_e32 v[48:49], v[226:227], v[48:49]
	v_mul_f64_e32 v[54:55], s[42:43], v[114:115]
	v_add_f64_e32 v[56:57], v[222:223], v[56:57]
	v_add_f64_e32 v[40:41], v[58:59], v[40:41]
	v_mul_f64_e32 v[58:59], s[18:19], v[100:101]
	v_add_f64_e32 v[50:51], v[50:51], v[42:43]
	v_add_f64_e64 v[46:47], v[46:47], -v[208:209]
	v_add_f64_e32 v[54:55], v[240:241], v[54:55]
	v_add_f64_e32 v[42:43], v[48:49], v[40:41]
	;; [unrolled: 1-line block ×3, first 2 shown]
	v_mul_f64_e32 v[48:49], s[22:23], v[134:135]
	v_add_f64_e32 v[40:41], v[46:47], v[50:51]
	v_mul_f64_e32 v[50:51], s[34:35], v[120:121]
	v_mul_f64_e32 v[46:47], s[12:13], v[138:139]
	v_add_f64_e32 v[44:45], v[58:59], v[44:45]
	v_add_f64_e32 v[58:59], v[66:67], v[78:79]
	v_mul_f64_e32 v[66:67], s[42:43], v[104:105]
	v_add_f64_e32 v[50:51], v[248:249], v[50:51]
	v_add_f64_e32 v[48:49], v[87:88], v[48:49]
	v_mul_f64_e32 v[78:79], s[22:23], v[90:91]
	v_add_f64_e32 v[46:47], v[150:151], v[46:47]
	v_mul_f64_e32 v[150:151], s[36:37], v[144:145]
	v_add_f64_e32 v[44:45], v[56:57], v[44:45]
	v_add_f64_e32 v[56:57], v[80:81], v[58:59]
	v_add_f64_e64 v[66:67], v[66:67], -v[202:203]
	v_mul_f64_e32 v[58:59], s[34:35], v[112:113]
	v_mul_f64_e32 v[80:81], s[2:3], v[94:95]
	v_add_f64_e64 v[78:79], v[78:79], -v[200:201]
	v_add_f64_e32 v[44:45], v[54:55], v[44:45]
	v_add_f64_e32 v[54:55], v[66:67], v[56:57]
	v_add_f64_e64 v[58:59], v[58:59], -v[210:211]
	v_mul_f64_e32 v[56:57], s[22:23], v[122:123]
	v_add_f64_e64 v[80:81], v[80:81], -v[218:219]
	v_mul_f64_e32 v[66:67], s[42:43], v[126:127]
	v_add_f64_e32 v[44:45], v[50:51], v[44:45]
	v_add_f64_e32 v[50:51], v[58:59], v[54:55]
	v_add_f64_e64 v[56:57], v[56:57], -v[214:215]
	v_mul_f64_e32 v[54:55], s[2:3], v[146:147]
	v_mul_f64_e32 v[58:59], s[2:3], v[108:109]
	v_add_f64_e64 v[66:67], v[66:67], -v[148:149]
	v_mul_f64_e32 v[148:149], s[34:35], v[146:147]
	v_add_f64_e32 v[44:45], v[48:49], v[44:45]
	v_add_f64_e32 v[48:49], v[56:57], v[50:51]
	v_add_f64_e32 v[54:55], v[244:245], v[54:55]
	v_mul_f64_e32 v[50:51], s[2:3], v[136:137]
	v_mul_f64_e32 v[56:57], s[34:35], v[114:115]
	v_add_f64_e32 v[58:59], v[242:243], v[58:59]
	v_add_f64_e32 v[44:45], v[46:47], v[44:45]
	;; [unrolled: 1-line block ×3, first 2 shown]
	v_mul_f64_e32 v[64:65], s[22:23], v[100:101]
	v_add_f64_e64 v[50:51], v[50:51], -v[230:231]
	v_add_f64_e32 v[56:57], v[250:251], v[56:57]
	v_add_f64_e32 v[46:47], v[54:55], v[44:45]
	v_mul_f64_e32 v[54:55], s[18:19], v[120:121]
	v_add_f64_e32 v[64:65], v[228:229], v[64:65]
	v_add_f64_e32 v[44:45], v[50:51], v[48:49]
	v_mul_f64_e32 v[50:51], s[6:7], v[134:135]
	v_mul_f64_e32 v[48:49], s[42:43], v[138:139]
	v_add_f64_e32 v[54:55], v[142:143], v[54:55]
	v_add_f64_e32 v[64:65], v[64:65], v[74:75]
	;; [unrolled: 1-line block ×3, first 2 shown]
	v_mul_f64_e32 v[76:77], s[34:35], v[104:105]
	v_add_f64_e32 v[50:51], v[152:153], v[50:51]
	v_add_f64_e32 v[48:49], v[154:155], v[48:49]
	;; [unrolled: 1-line block ×4, first 2 shown]
	v_add_f64_e64 v[76:77], v[76:77], -v[224:225]
	v_mul_f64_e32 v[74:75], s[18:19], v[112:113]
	s_delay_alu instid0(VALU_DEP_4) | instskip(NEXT) | instid1(VALU_DEP_3)
	v_add_f64_e32 v[56:57], v[56:57], v[58:59]
	v_add_f64_e32 v[58:59], v[76:77], v[64:65]
	s_delay_alu instid0(VALU_DEP_3) | instskip(SKIP_1) | instid1(VALU_DEP_4)
	v_add_f64_e64 v[74:75], v[74:75], -v[232:233]
	v_mul_f64_e32 v[64:65], s[6:7], v[122:123]
	v_add_f64_e32 v[54:55], v[54:55], v[56:57]
	s_delay_alu instid0(VALU_DEP_3) | instskip(NEXT) | instid1(VALU_DEP_3)
	v_add_f64_e32 v[56:57], v[74:75], v[58:59]
	v_add_f64_e64 v[64:65], v[64:65], -v[236:237]
	v_mul_f64_e32 v[58:59], s[12:13], v[146:147]
	s_delay_alu instid0(VALU_DEP_4) | instskip(NEXT) | instid1(VALU_DEP_3)
	v_add_f64_e32 v[50:51], v[50:51], v[54:55]
	v_add_f64_e32 v[54:55], v[64:65], v[56:57]
	v_mul_f64_e32 v[56:57], s[12:13], v[136:137]
	s_delay_alu instid0(VALU_DEP_4) | instskip(NEXT) | instid1(VALU_DEP_4)
	v_add_f64_e32 v[58:59], v[254:255], v[58:59]
	v_add_f64_e32 v[48:49], v[48:49], v[50:51]
	s_delay_alu instid0(VALU_DEP_4) | instskip(NEXT) | instid1(VALU_DEP_4)
	v_add_f64_e32 v[54:55], v[66:67], v[54:55]
	v_add_f64_e64 v[56:57], v[56:57], -v[246:247]
	s_delay_alu instid0(VALU_DEP_3) | instskip(SKIP_1) | instid1(VALU_DEP_3)
	v_add_f64_e32 v[50:51], v[58:59], v[48:49]
	v_mul_f64_e32 v[58:59], s[28:29], v[96:97]
	v_add_f64_e32 v[48:49], v[56:57], v[54:55]
	v_mul_f64_e32 v[56:57], s[26:27], v[100:101]
	s_delay_alu instid0(VALU_DEP_1) | instskip(SKIP_1) | instid1(VALU_DEP_2)
	v_fma_f64 v[54:55], v[92:93], s[28:29], v[56:57]
	v_fma_f64 v[56:57], v[92:93], s[30:31], v[56:57]
	v_add_f64_e32 v[52:53], v[54:55], v[52:53]
	v_fma_f64 v[54:55], v[90:91], s[26:27], -v[58:59]
	s_delay_alu instid0(VALU_DEP_3) | instskip(SKIP_1) | instid1(VALU_DEP_3)
	v_add_f64_e32 v[56:57], v[56:57], v[72:73]
	v_fma_f64 v[58:59], v[90:91], s[26:27], v[58:59]
	v_add_f64_e32 v[54:55], v[54:55], v[60:61]
	v_mul_f64_e32 v[60:61], s[42:43], v[108:109]
	s_delay_alu instid0(VALU_DEP_3) | instskip(NEXT) | instid1(VALU_DEP_2)
	v_add_f64_e32 v[58:59], v[58:59], v[68:69]
	v_fma_f64 v[64:65], v[102:103], s[54:55], v[60:61]
	v_fma_f64 v[60:61], v[102:103], s[46:47], v[60:61]
	s_delay_alu instid0(VALU_DEP_2) | instskip(SKIP_1) | instid1(VALU_DEP_3)
	v_add_f64_e32 v[52:53], v[64:65], v[52:53]
	v_mul_f64_e32 v[64:65], s[54:55], v[98:99]
	v_add_f64_e32 v[56:57], v[60:61], v[56:57]
	s_delay_alu instid0(VALU_DEP_2) | instskip(SKIP_2) | instid1(VALU_DEP_3)
	v_fma_f64 v[66:67], v[94:95], s[42:43], -v[64:65]
	v_fma_f64 v[60:61], v[94:95], s[42:43], v[64:65]
	v_fma_f64 v[64:65], v[136:137], s[34:35], v[150:151]
	v_add_f64_e32 v[54:55], v[66:67], v[54:55]
	v_mul_f64_e32 v[66:67], s[22:23], v[114:115]
	s_delay_alu instid0(VALU_DEP_4) | instskip(NEXT) | instid1(VALU_DEP_2)
	v_add_f64_e32 v[58:59], v[60:61], v[58:59]
	v_fma_f64 v[74:75], v[106:107], s[48:49], v[66:67]
	v_fma_f64 v[60:61], v[106:107], s[24:25], v[66:67]
	v_mul_f64_e32 v[66:67], s[10:11], v[96:97]
	s_delay_alu instid0(VALU_DEP_3) | instskip(SKIP_1) | instid1(VALU_DEP_4)
	v_add_f64_e32 v[52:53], v[74:75], v[52:53]
	v_mul_f64_e32 v[74:75], s[48:49], v[110:111]
	v_add_f64_e32 v[56:57], v[60:61], v[56:57]
	s_delay_alu instid0(VALU_DEP_4) | instskip(SKIP_1) | instid1(VALU_DEP_4)
	v_fma_f64 v[68:69], v[90:91], s[2:3], -v[66:67]
	v_fma_f64 v[66:67], v[90:91], s[2:3], v[66:67]
	v_fma_f64 v[76:77], v[104:105], s[22:23], -v[74:75]
	v_fma_f64 v[60:61], v[104:105], s[22:23], v[74:75]
	s_delay_alu instid0(VALU_DEP_4)
	v_add_f64_e32 v[62:63], v[68:69], v[62:63]
	v_mul_f64_e32 v[68:69], s[34:35], v[108:109]
	v_add_f64_e32 v[66:67], v[66:67], v[70:71]
	v_mul_f64_e32 v[108:109], s[20:21], v[144:145]
	;; [unrolled: 2-line block ×3, first 2 shown]
	v_add_f64_e32 v[58:59], v[60:61], v[58:59]
	v_fma_f64 v[72:73], v[102:103], s[38:39], v[68:69]
	v_fma_f64 v[68:69], v[102:103], s[36:37], v[68:69]
	s_delay_alu instid0(VALU_DEP_4) | instskip(SKIP_1) | instid1(VALU_DEP_2)
	v_fma_f64 v[78:79], v[116:117], s[52:53], v[76:77]
	v_fma_f64 v[60:61], v[116:117], s[14:15], v[76:77]
	v_add_f64_e32 v[52:53], v[78:79], v[52:53]
	v_mul_f64_e32 v[78:79], s[52:53], v[118:119]
	s_delay_alu instid0(VALU_DEP_3) | instskip(NEXT) | instid1(VALU_DEP_2)
	v_add_f64_e32 v[56:57], v[60:61], v[56:57]
	v_fma_f64 v[80:81], v[112:113], s[6:7], -v[78:79]
	v_fma_f64 v[60:61], v[112:113], s[6:7], v[78:79]
	s_delay_alu instid0(VALU_DEP_2) | instskip(SKIP_1) | instid1(VALU_DEP_3)
	v_add_f64_e32 v[54:55], v[80:81], v[54:55]
	v_mul_f64_e32 v[80:81], s[2:3], v[134:135]
	v_add_f64_e32 v[58:59], v[60:61], v[58:59]
	s_delay_alu instid0(VALU_DEP_2) | instskip(SKIP_1) | instid1(VALU_DEP_2)
	v_fma_f64 v[82:83], v[124:125], s[10:11], v[80:81]
	v_fma_f64 v[60:61], v[124:125], s[44:45], v[80:81]
	v_add_f64_e32 v[52:53], v[82:83], v[52:53]
	v_mul_f64_e32 v[82:83], s[10:11], v[130:131]
	s_delay_alu instid0(VALU_DEP_3) | instskip(NEXT) | instid1(VALU_DEP_2)
	v_add_f64_e32 v[56:57], v[60:61], v[56:57]
	v_fma_f64 v[85:86], v[122:123], s[2:3], -v[82:83]
	v_fma_f64 v[60:61], v[122:123], s[2:3], v[82:83]
	s_delay_alu instid0(VALU_DEP_2) | instskip(SKIP_1) | instid1(VALU_DEP_3)
	v_add_f64_e32 v[54:55], v[85:86], v[54:55]
	v_mul_f64_e32 v[85:86], s[18:19], v[138:139]
	v_add_f64_e32 v[58:59], v[60:61], v[58:59]
	s_delay_alu instid0(VALU_DEP_2) | instskip(SKIP_1) | instid1(VALU_DEP_2)
	v_fma_f64 v[87:88], v[128:129], s[20:21], v[85:86]
	v_fma_f64 v[60:61], v[128:129], s[40:41], v[85:86]
	v_add_f64_e32 v[52:53], v[87:88], v[52:53]
	v_mul_f64_e32 v[87:88], s[20:21], v[132:133]
	s_delay_alu instid0(VALU_DEP_3) | instskip(NEXT) | instid1(VALU_DEP_2)
	v_add_f64_e32 v[56:57], v[60:61], v[56:57]
	v_fma_f64 v[60:61], v[126:127], s[18:19], v[87:88]
	v_fma_f64 v[142:143], v[126:127], s[18:19], -v[87:88]
	s_delay_alu instid0(VALU_DEP_2) | instskip(SKIP_1) | instid1(VALU_DEP_3)
	v_add_f64_e32 v[60:61], v[60:61], v[58:59]
	v_fma_f64 v[58:59], v[140:141], s[38:39], v[148:149]
	v_add_f64_e32 v[142:143], v[142:143], v[54:55]
	v_fma_f64 v[54:55], v[140:141], s[36:37], v[148:149]
	s_delay_alu instid0(VALU_DEP_3)
	v_add_f64_e32 v[58:59], v[58:59], v[56:57]
	v_add_f64_e32 v[56:57], v[64:65], v[60:61]
	v_mul_f64_e32 v[64:65], s[2:3], v[100:101]
	v_mul_f64_e32 v[100:101], s[18:19], v[146:147]
	v_add_f64_e32 v[54:55], v[54:55], v[52:53]
	v_fma_f64 v[52:53], v[136:137], s[34:35], -v[150:151]
	s_delay_alu instid0(VALU_DEP_4) | instskip(SKIP_1) | instid1(VALU_DEP_3)
	v_fma_f64 v[60:61], v[92:93], s[10:11], v[64:65]
	v_fma_f64 v[64:65], v[92:93], s[44:45], v[64:65]
	v_add_f64_e32 v[52:53], v[52:53], v[142:143]
	s_delay_alu instid0(VALU_DEP_3) | instskip(NEXT) | instid1(VALU_DEP_3)
	v_add_f64_e32 v[60:61], v[60:61], v[158:159]
	v_add_f64_e32 v[64:65], v[64:65], v[156:157]
	s_delay_alu instid0(VALU_DEP_2) | instskip(SKIP_1) | instid1(VALU_DEP_3)
	v_add_f64_e32 v[60:61], v[72:73], v[60:61]
	v_mul_f64_e32 v[72:73], s[38:39], v[98:99]
	v_add_f64_e32 v[64:65], v[68:69], v[64:65]
	s_delay_alu instid0(VALU_DEP_2) | instskip(SKIP_1) | instid1(VALU_DEP_2)
	v_fma_f64 v[74:75], v[94:95], s[34:35], -v[72:73]
	v_fma_f64 v[72:73], v[94:95], s[34:35], v[72:73]
	v_add_f64_e32 v[62:63], v[74:75], v[62:63]
	v_mul_f64_e32 v[74:75], s[6:7], v[114:115]
	s_delay_alu instid0(VALU_DEP_3) | instskip(NEXT) | instid1(VALU_DEP_2)
	v_add_f64_e32 v[66:67], v[72:73], v[66:67]
	v_fma_f64 v[76:77], v[106:107], s[14:15], v[74:75]
	v_fma_f64 v[70:71], v[106:107], s[52:53], v[74:75]
	s_delay_alu instid0(VALU_DEP_2) | instskip(SKIP_1) | instid1(VALU_DEP_3)
	v_add_f64_e32 v[60:61], v[76:77], v[60:61]
	v_mul_f64_e32 v[76:77], s[14:15], v[110:111]
	v_add_f64_e32 v[64:65], v[70:71], v[64:65]
	s_delay_alu instid0(VALU_DEP_2) | instskip(SKIP_1) | instid1(VALU_DEP_2)
	v_fma_f64 v[78:79], v[104:105], s[6:7], -v[76:77]
	v_fma_f64 v[74:75], v[104:105], s[6:7], v[76:77]
	v_add_f64_e32 v[62:63], v[78:79], v[62:63]
	v_mul_f64_e32 v[78:79], s[26:27], v[120:121]
	s_delay_alu instid0(VALU_DEP_3) | instskip(NEXT) | instid1(VALU_DEP_2)
	v_add_f64_e32 v[66:67], v[74:75], v[66:67]
	v_fma_f64 v[80:81], v[116:117], s[30:31], v[78:79]
	v_fma_f64 v[68:69], v[116:117], s[28:29], v[78:79]
	;; [unrolled: 13-line block ×3, first 2 shown]
	s_delay_alu instid0(VALU_DEP_2) | instskip(SKIP_1) | instid1(VALU_DEP_3)
	v_add_f64_e32 v[60:61], v[85:86], v[60:61]
	v_mul_f64_e32 v[85:86], s[16:17], v[130:131]
	v_add_f64_e32 v[64:65], v[70:71], v[64:65]
	v_fma_f64 v[70:71], v[140:141], s[40:41], v[100:101]
	s_delay_alu instid0(VALU_DEP_3) | instskip(SKIP_1) | instid1(VALU_DEP_2)
	v_fma_f64 v[87:88], v[122:123], s[12:13], -v[85:86]
	v_fma_f64 v[74:75], v[122:123], s[12:13], v[85:86]
	v_add_f64_e32 v[62:63], v[87:88], v[62:63]
	v_mul_f64_e32 v[87:88], s[22:23], v[138:139]
	s_delay_alu instid0(VALU_DEP_3) | instskip(SKIP_1) | instid1(VALU_DEP_3)
	v_add_f64_e32 v[66:67], v[74:75], v[66:67]
	v_fma_f64 v[74:75], v[136:137], s[18:19], v[108:109]
	v_fma_f64 v[96:97], v[128:129], s[48:49], v[87:88]
	;; [unrolled: 1-line block ×3, first 2 shown]
	s_delay_alu instid0(VALU_DEP_2) | instskip(SKIP_1) | instid1(VALU_DEP_3)
	v_add_f64_e32 v[60:61], v[96:97], v[60:61]
	v_mul_f64_e32 v[96:97], s[48:49], v[132:133]
	v_add_f64_e32 v[64:65], v[68:69], v[64:65]
	s_delay_alu instid0(VALU_DEP_2) | instskip(SKIP_1) | instid1(VALU_DEP_2)
	v_fma_f64 v[98:99], v[126:127], s[22:23], -v[96:97]
	v_fma_f64 v[72:73], v[126:127], s[22:23], v[96:97]
	v_add_f64_e32 v[98:99], v[98:99], v[62:63]
	v_fma_f64 v[62:63], v[140:141], s[20:21], v[100:101]
	s_delay_alu instid0(VALU_DEP_3) | instskip(SKIP_1) | instid1(VALU_DEP_3)
	v_add_f64_e32 v[68:69], v[72:73], v[66:67]
	v_add_f64_e32 v[66:67], v[70:71], v[64:65]
	;; [unrolled: 1-line block ×3, first 2 shown]
	v_fma_f64 v[60:61], v[136:137], s[18:19], -v[108:109]
	s_delay_alu instid0(VALU_DEP_4) | instskip(SKIP_1) | instid1(VALU_DEP_1)
	v_add_f64_e32 v[64:65], v[74:75], v[68:69]
	v_mul_u32_u24_e32 v68, 0x110, v84
	v_add3_u32 v68, 0, v68, v89
	s_delay_alu instid0(VALU_DEP_4)
	v_add_f64_e32 v[60:61], v[60:61], v[98:99]
	ds_store_b128 v68, v[36:39] offset:32
	ds_store_b128 v68, v[40:43] offset:48
	;; [unrolled: 1-line block ×15, first 2 shown]
	ds_store_b128 v68, v[16:19]
	ds_store_b128 v68, v[64:67] offset:256
.LBB0_18:
	s_wait_alu 0xfffe
	s_or_b32 exec_lo, exec_lo, s1
	global_wb scope:SCOPE_SE
	s_wait_dscnt 0x0
	s_barrier_signal -1
	s_barrier_wait -1
	global_inv scope:SCOPE_SE
	ds_load_b128 v[16:19], v176
	ds_load_b128 v[20:23], v177 offset:1088
	ds_load_b128 v[44:47], v177 offset:7616
	;; [unrolled: 1-line block ×11, first 2 shown]
	v_cmp_gt_u32_e64 s0, 34, v84
	s_delay_alu instid0(VALU_DEP_1)
	s_and_saveexec_b32 s1, s0
	s_cbranch_execz .LBB0_20
; %bb.19:
	ds_load_b128 v[12:15], v177 offset:3264
	ds_load_b128 v[8:11], v177 offset:7072
	;; [unrolled: 1-line block ×4, first 2 shown]
.LBB0_20:
	s_wait_alu 0xfffe
	s_or_b32 exec_lo, exec_lo, s1
	v_add_nc_u16 v66, v84, 0x44
	v_and_b32_e32 v64, 0xff, v84
	s_delay_alu instid0(VALU_DEP_2) | instskip(NEXT) | instid1(VALU_DEP_2)
	v_and_b32_e32 v67, 0xff, v66
	v_mul_lo_u16 v65, 0xf1, v64
	v_add_nc_u16 v64, v84, 0x88
	s_delay_alu instid0(VALU_DEP_3) | instskip(NEXT) | instid1(VALU_DEP_3)
	v_mul_lo_u16 v67, 0xf1, v67
	v_lshrrev_b16 v122, 12, v65
	s_delay_alu instid0(VALU_DEP_3) | instskip(NEXT) | instid1(VALU_DEP_3)
	v_and_b32_e32 v65, 0xff, v64
	v_lshrrev_b16 v123, 12, v67
	s_delay_alu instid0(VALU_DEP_3) | instskip(NEXT) | instid1(VALU_DEP_3)
	v_mul_lo_u16 v68, v122, 17
	v_mul_lo_u16 v67, 0xf1, v65
	s_delay_alu instid0(VALU_DEP_3) | instskip(NEXT) | instid1(VALU_DEP_3)
	v_mul_lo_u16 v69, v123, 17
	v_sub_nc_u16 v68, v84, v68
	s_delay_alu instid0(VALU_DEP_3) | instskip(NEXT) | instid1(VALU_DEP_3)
	v_lshrrev_b16 v124, 12, v67
	v_sub_nc_u16 v66, v66, v69
	s_delay_alu instid0(VALU_DEP_3) | instskip(NEXT) | instid1(VALU_DEP_3)
	v_and_b32_e32 v125, 0xff, v68
	v_mul_lo_u16 v67, v124, 17
	s_delay_alu instid0(VALU_DEP_3) | instskip(NEXT) | instid1(VALU_DEP_3)
	v_and_b32_e32 v126, 0xff, v66
	v_mul_u32_u24_e32 v68, 3, v125
	s_delay_alu instid0(VALU_DEP_3) | instskip(NEXT) | instid1(VALU_DEP_3)
	v_sub_nc_u16 v66, v64, v67
	v_mul_u32_u24_e32 v75, 3, v126
	s_delay_alu instid0(VALU_DEP_3) | instskip(NEXT) | instid1(VALU_DEP_3)
	v_lshlrev_b32_e32 v74, 4, v68
	v_and_b32_e32 v127, 0xff, v66
	s_clause 0x1
	global_load_b128 v[66:69], v74, s[4:5] offset:16
	global_load_b128 v[70:73], v74, s[4:5]
	v_lshlrev_b32_e32 v82, 4, v75
	v_mul_u32_u24_e32 v83, 3, v127
	s_clause 0x1
	global_load_b128 v[74:77], v74, s[4:5] offset:32
	global_load_b128 v[78:81], v82, s[4:5]
	v_lshlrev_b32_e32 v83, 4, v83
	s_clause 0x4
	global_load_b128 v[85:88], v82, s[4:5] offset:16
	global_load_b128 v[90:93], v82, s[4:5] offset:32
	global_load_b128 v[94:97], v83, s[4:5]
	global_load_b128 v[98:101], v83, s[4:5] offset:16
	global_load_b128 v[102:105], v83, s[4:5] offset:32
	global_wb scope:SCOPE_SE
	s_wait_loadcnt_dscnt 0x0
	s_barrier_signal -1
	s_barrier_wait -1
	global_inv scope:SCOPE_SE
	v_mul_f64_e32 v[106:107], v[46:47], v[68:69]
	v_mul_f64_e32 v[82:83], v[58:59], v[72:73]
	;; [unrolled: 1-line block ×18, first 2 shown]
	v_fma_f64 v[44:45], v[44:45], v[66:67], -v[106:107]
	v_fma_f64 v[56:57], v[56:57], v[70:71], -v[82:83]
	v_fma_f64 v[58:59], v[58:59], v[70:71], v[72:73]
	v_fma_f64 v[46:47], v[46:47], v[66:67], v[68:69]
	v_fma_f64 v[60:61], v[60:61], v[74:75], -v[108:109]
	v_fma_f64 v[62:63], v[62:63], v[74:75], v[76:77]
	v_fma_f64 v[48:49], v[48:49], v[78:79], -v[110:111]
	;; [unrolled: 2-line block ×7, first 2 shown]
	v_fma_f64 v[42:43], v[42:43], v[102:103], v[104:105]
	v_add_f64_e64 v[44:45], v[16:17], -v[44:45]
	v_add_f64_e64 v[46:47], v[18:19], -v[46:47]
	;; [unrolled: 1-line block ×12, first 2 shown]
	v_fma_f64 v[16:17], v[16:17], 2.0, -v[44:45]
	v_fma_f64 v[72:73], v[18:19], 2.0, -v[46:47]
	;; [unrolled: 1-line block ×4, first 2 shown]
	v_add_f64_e64 v[18:19], v[44:45], -v[62:63]
	v_and_b32_e32 v62, 0xffff, v123
	v_fma_f64 v[56:57], v[20:21], 2.0, -v[66:67]
	v_fma_f64 v[74:75], v[22:23], 2.0, -v[68:69]
	;; [unrolled: 1-line block ×4, first 2 shown]
	v_add_f64_e64 v[22:23], v[66:67], -v[28:29]
	v_add_f64_e32 v[20:21], v[46:47], v[60:61]
	v_fma_f64 v[76:77], v[24:25], 2.0, -v[54:55]
	v_fma_f64 v[78:79], v[26:27], 2.0, -v[70:71]
	;; [unrolled: 1-line block ×4, first 2 shown]
	v_add_f64_e32 v[24:25], v[68:69], v[30:31]
	v_add_f64_e64 v[30:31], v[54:55], -v[36:37]
	v_and_b32_e32 v63, 0xffff, v124
	v_mad_u32_u24 v62, 0x440, v62, 0
	s_delay_alu instid0(VALU_DEP_2)
	v_mad_u32_u24 v63, 0x440, v63, 0
	v_add_f64_e64 v[26:27], v[16:17], -v[38:39]
	v_add_f64_e64 v[28:29], v[72:73], -v[40:41]
	;; [unrolled: 1-line block ×4, first 2 shown]
	v_fma_f64 v[42:43], v[44:45], 2.0, -v[18:19]
	v_fma_f64 v[44:45], v[46:47], 2.0, -v[20:21]
	;; [unrolled: 1-line block ×3, first 2 shown]
	v_add_f64_e64 v[38:39], v[76:77], -v[32:33]
	v_add_f64_e64 v[40:41], v[78:79], -v[50:51]
	v_add_f64_e32 v[32:33], v[70:71], v[52:53]
	v_fma_f64 v[48:49], v[68:69], 2.0, -v[24:25]
	v_fma_f64 v[54:55], v[54:55], 2.0, -v[30:31]
	;; [unrolled: 1-line block ×4, first 2 shown]
	v_add_nc_u32_e32 v16, 0xcc, v84
	v_and_b32_e32 v17, 0xffff, v122
	v_lshlrev_b32_e32 v72, 4, v125
	v_lshlrev_b32_e32 v73, 4, v126
	v_fma_f64 v[58:59], v[56:57], 2.0, -v[34:35]
	v_fma_f64 v[60:61], v[74:75], 2.0, -v[36:37]
	v_lshlrev_b32_e32 v74, 4, v127
	s_delay_alu instid0(VALU_DEP_4)
	v_add3_u32 v62, v62, v73, v89
	v_fma_f64 v[66:67], v[76:77], 2.0, -v[38:39]
	v_fma_f64 v[68:69], v[78:79], 2.0, -v[40:41]
	;; [unrolled: 1-line block ×3, first 2 shown]
	v_and_b32_e32 v70, 0xffff, v16
	v_mad_u32_u24 v71, 0x440, v17, 0
	v_add3_u32 v63, v63, v74, v89
	s_delay_alu instid0(VALU_DEP_3) | instskip(NEXT) | instid1(VALU_DEP_3)
	v_mul_u32_u24_e32 v17, 0xf0f1, v70
	v_add3_u32 v70, v71, v72, v89
	ds_store_b128 v70, v[26:29] offset:544
	ds_store_b128 v70, v[18:21] offset:816
	ds_store_b128 v70, v[50:53]
	ds_store_b128 v70, v[42:45] offset:272
	ds_store_b128 v62, v[34:37] offset:544
	;; [unrolled: 1-line block ×3, first 2 shown]
	ds_store_b128 v62, v[58:61]
	ds_store_b128 v62, v[46:49] offset:272
	ds_store_b128 v63, v[66:69]
	ds_store_b128 v63, v[54:57] offset:272
	ds_store_b128 v63, v[38:41] offset:544
	ds_store_b128 v63, v[30:33] offset:816
	s_and_saveexec_b32 s1, s0
	s_cbranch_execz .LBB0_22
; %bb.21:
	v_lshrrev_b32_e32 v18, 20, v17
	s_delay_alu instid0(VALU_DEP_1) | instskip(NEXT) | instid1(VALU_DEP_1)
	v_mul_lo_u16 v18, v18, 17
	v_sub_nc_u16 v18, v16, v18
	s_delay_alu instid0(VALU_DEP_1) | instskip(NEXT) | instid1(VALU_DEP_1)
	v_and_b32_e32 v36, 0xffff, v18
	v_mul_u32_u24_e32 v18, 3, v36
	s_delay_alu instid0(VALU_DEP_1)
	v_lshlrev_b32_e32 v26, 4, v18
	s_clause 0x2
	global_load_b128 v[18:21], v26, s[4:5] offset:16
	global_load_b128 v[22:25], v26, s[4:5]
	global_load_b128 v[26:29], v26, s[4:5] offset:32
	s_wait_loadcnt 0x2
	v_mul_f64_e32 v[30:31], v[4:5], v[20:21]
	s_wait_loadcnt 0x1
	v_mul_f64_e32 v[32:33], v[10:11], v[24:25]
	v_mul_f64_e32 v[24:25], v[8:9], v[24:25]
	s_wait_loadcnt 0x0
	v_mul_f64_e32 v[34:35], v[0:1], v[28:29]
	v_mul_f64_e32 v[20:21], v[6:7], v[20:21]
	;; [unrolled: 1-line block ×3, first 2 shown]
	v_fma_f64 v[6:7], v[6:7], v[18:19], v[30:31]
	v_fma_f64 v[8:9], v[8:9], v[22:23], -v[32:33]
	v_fma_f64 v[10:11], v[10:11], v[22:23], v[24:25]
	v_fma_f64 v[2:3], v[2:3], v[26:27], v[34:35]
	v_fma_f64 v[4:5], v[4:5], v[18:19], -v[20:21]
	v_fma_f64 v[0:1], v[0:1], v[26:27], -v[28:29]
	v_add_f64_e64 v[18:19], v[14:15], -v[6:7]
	s_delay_alu instid0(VALU_DEP_4) | instskip(NEXT) | instid1(VALU_DEP_4)
	v_add_f64_e64 v[20:21], v[10:11], -v[2:3]
	v_add_f64_e64 v[22:23], v[12:13], -v[4:5]
	s_delay_alu instid0(VALU_DEP_4) | instskip(NEXT) | instid1(VALU_DEP_4)
	v_add_f64_e64 v[0:1], v[8:9], -v[0:1]
	v_fma_f64 v[14:15], v[14:15], 2.0, -v[18:19]
	s_delay_alu instid0(VALU_DEP_4) | instskip(NEXT) | instid1(VALU_DEP_4)
	v_fma_f64 v[4:5], v[10:11], 2.0, -v[20:21]
	v_fma_f64 v[12:13], v[12:13], 2.0, -v[22:23]
	s_delay_alu instid0(VALU_DEP_4) | instskip(SKIP_3) | instid1(VALU_DEP_4)
	v_fma_f64 v[8:9], v[8:9], 2.0, -v[0:1]
	v_add_f64_e32 v[2:3], v[18:19], v[0:1]
	v_add_f64_e64 v[0:1], v[22:23], -v[20:21]
	v_add_f64_e64 v[6:7], v[14:15], -v[4:5]
	;; [unrolled: 1-line block ×3, first 2 shown]
	s_delay_alu instid0(VALU_DEP_4) | instskip(NEXT) | instid1(VALU_DEP_4)
	v_fma_f64 v[10:11], v[18:19], 2.0, -v[2:3]
	v_fma_f64 v[8:9], v[22:23], 2.0, -v[0:1]
	v_and_b32_e32 v18, 0xff, v16
	v_lshlrev_b32_e32 v19, 4, v36
	s_delay_alu instid0(VALU_DEP_2) | instskip(NEXT) | instid1(VALU_DEP_1)
	v_mul_lo_u16 v18, 0xf1, v18
	v_lshrrev_b16 v18, 12, v18
	s_delay_alu instid0(VALU_DEP_1) | instskip(NEXT) | instid1(VALU_DEP_1)
	v_and_b32_e32 v18, 0xffff, v18
	v_mad_u32_u24 v18, 0x440, v18, 0
	s_delay_alu instid0(VALU_DEP_1)
	v_add3_u32 v18, v18, v19, v89
	v_fma_f64 v[14:15], v[14:15], 2.0, -v[6:7]
	v_fma_f64 v[12:13], v[12:13], 2.0, -v[4:5]
	ds_store_b128 v18, v[12:15]
	ds_store_b128 v18, v[8:11] offset:272
	ds_store_b128 v18, v[4:7] offset:544
	;; [unrolled: 1-line block ×3, first 2 shown]
.LBB0_22:
	s_wait_alu 0xfffe
	s_or_b32 exec_lo, exec_lo, s1
	global_wb scope:SCOPE_SE
	s_wait_dscnt 0x0
	s_barrier_signal -1
	s_barrier_wait -1
	global_inv scope:SCOPE_SE
	scratch_load_b64 v[0:1], off, off th:TH_LOAD_LU ; 8-byte Folded Reload
	v_add_nc_u32_e32 v2, 0x110, v84
	v_add_nc_u32_e32 v3, 0x154, v84
	;; [unrolled: 1-line block ×3, first 2 shown]
	v_mul_lo_u16 v7, 0x79, v65
	v_lshrrev_b32_e32 v8, 22, v17
	v_and_b32_e32 v5, 0xffff, v2
	v_and_b32_e32 v6, 0xffff, v3
	;; [unrolled: 1-line block ×3, first 2 shown]
	v_lshrrev_b16 v7, 13, v7
	v_mul_lo_u16 v8, 0x44, v8
	v_mul_u32_u24_e32 v5, 0xf0f1, v5
	v_mul_u32_u24_e32 v6, 0xf0f1, v6
	;; [unrolled: 1-line block ×3, first 2 shown]
	v_mul_lo_u16 v7, 0x44, v7
	v_sub_nc_u16 v8, v16, v8
	v_lshrrev_b32_e32 v5, 22, v5
	v_lshrrev_b32_e32 v6, 22, v6
	;; [unrolled: 1-line block ×3, first 2 shown]
	v_sub_nc_u16 v7, v64, v7
	v_and_b32_e32 v8, 0xffff, v8
	v_mul_lo_u16 v5, 0x44, v5
	v_mul_lo_u16 v6, 0x44, v6
	;; [unrolled: 1-line block ×3, first 2 shown]
	s_mov_b32 s2, 0x36b3c0b5
	v_lshlrev_b32_e32 v72, 4, v8
	v_sub_nc_u16 v2, v2, v5
	v_sub_nc_u16 v3, v3, v6
	v_and_b32_e32 v5, 0xff, v7
	v_sub_nc_u16 v4, v4, v9
	s_mov_b32 s3, 0x3fac98ee
	v_and_b32_e32 v6, 0xffff, v2
	v_and_b32_e32 v8, 0xffff, v3
	v_lshlrev_b32_e32 v73, 4, v5
	v_and_b32_e32 v12, 0xffff, v4
	s_mov_b32 s6, 0x429ad128
	v_lshlrev_b32_e32 v74, 4, v6
	global_load_b128 v[4:7], v72, s[4:5] offset:816
	v_lshlrev_b32_e32 v75, 4, v8
	global_load_b128 v[8:11], v73, s[4:5] offset:816
	v_lshlrev_b32_e32 v76, 4, v12
	s_mov_b32 s7, 0x3febfeb5
	s_mov_b32 s10, 0xaaaaaaaa
	;; [unrolled: 1-line block ×6, first 2 shown]
	s_wait_alu 0xfffe
	s_mov_b32 s14, s12
	s_wait_loadcnt 0x2
	v_add_co_u32 v0, s0, s4, v0
	s_wait_alu 0xf1ff
	v_add_co_ci_u32_e64 v1, s0, s5, v1, s0
	s_mov_b32 s0, 0x37e14327
	s_mov_b32 s1, 0x3fe948f6
	s_clause 0x3
	global_load_b128 v[0:3], v[0:1], off offset:816
	global_load_b128 v[12:15], v74, s[4:5] offset:816
	global_load_b128 v[16:19], v75, s[4:5] offset:816
	;; [unrolled: 1-line block ×3, first 2 shown]
	ds_load_b128 v[24:27], v177 offset:7616
	ds_load_b128 v[28:31], v177 offset:8704
	;; [unrolled: 1-line block ×8, first 2 shown]
	s_wait_loadcnt_dscnt 0x505
	v_mul_f64_e32 v[62:63], v[34:35], v[6:7]
	v_mul_f64_e32 v[6:7], v[32:33], v[6:7]
	s_wait_loadcnt_dscnt 0x404
	v_mul_f64_e32 v[64:65], v[38:39], v[10:11]
	v_mul_f64_e32 v[10:11], v[36:37], v[10:11]
	s_delay_alu instid0(VALU_DEP_4) | instskip(NEXT) | instid1(VALU_DEP_4)
	v_fma_f64 v[32:33], v[32:33], v[4:5], -v[62:63]
	v_fma_f64 v[34:35], v[34:35], v[4:5], v[6:7]
	s_delay_alu instid0(VALU_DEP_4) | instskip(NEXT) | instid1(VALU_DEP_4)
	v_fma_f64 v[36:37], v[36:37], v[8:9], -v[64:65]
	v_fma_f64 v[38:39], v[38:39], v[8:9], v[10:11]
	s_wait_loadcnt_dscnt 0x203
	v_mul_f64_e32 v[66:67], v[42:43], v[14:15]
	v_mul_f64_e32 v[56:57], v[26:27], v[2:3]
	;; [unrolled: 1-line block ×6, first 2 shown]
	s_wait_loadcnt_dscnt 0x102
	v_mul_f64_e32 v[68:69], v[46:47], v[18:19]
	v_mul_f64_e32 v[18:19], v[44:45], v[18:19]
	s_wait_loadcnt_dscnt 0x1
	v_mul_f64_e32 v[70:71], v[50:51], v[22:23]
	v_mul_f64_e32 v[22:23], v[48:49], v[22:23]
	v_fma_f64 v[40:41], v[40:41], v[12:13], -v[66:67]
	v_fma_f64 v[24:25], v[24:25], v[0:1], -v[56:57]
	v_fma_f64 v[26:27], v[26:27], v[0:1], v[58:59]
	v_fma_f64 v[28:29], v[28:29], v[0:1], -v[60:61]
	v_fma_f64 v[30:31], v[30:31], v[0:1], v[2:3]
	v_fma_f64 v[42:43], v[42:43], v[12:13], v[14:15]
	v_fma_f64 v[44:45], v[44:45], v[16:17], -v[68:69]
	v_fma_f64 v[46:47], v[46:47], v[16:17], v[18:19]
	v_fma_f64 v[48:49], v[48:49], v[20:21], -v[70:71]
	v_fma_f64 v[50:51], v[50:51], v[20:21], v[22:23]
	ds_load_b128 v[0:3], v176
	ds_load_b128 v[4:7], v177 offset:1088
	ds_load_b128 v[8:11], v177 offset:3264
	;; [unrolled: 1-line block ×5, first 2 shown]
	v_mul_u32_u24_e32 v56, 6, v84
	v_add3_u32 v57, 0, v72, v89
	v_add3_u32 v58, 0, v73, v89
	global_wb scope:SCOPE_SE
	s_wait_dscnt 0x0
	s_barrier_signal -1
	v_lshlrev_b32_e32 v56, 4, v56
	s_barrier_wait -1
	global_inv scope:SCOPE_SE
	v_add3_u32 v59, 0, v74, v89
	v_add3_u32 v60, 0, v75, v89
	;; [unrolled: 1-line block ×3, first 2 shown]
	v_add_f64_e64 v[32:33], v[8:9], -v[32:33]
	v_add_f64_e64 v[34:35], v[10:11], -v[34:35]
	;; [unrolled: 1-line block ×14, first 2 shown]
	v_fma_f64 v[8:9], v[8:9], 2.0, -v[32:33]
	v_fma_f64 v[10:11], v[10:11], 2.0, -v[34:35]
	;; [unrolled: 1-line block ×14, first 2 shown]
	ds_store_b128 v177, v[0:3]
	ds_store_b128 v177, v[24:27] offset:1088
	ds_store_b128 v177, v[4:7] offset:2176
	ds_store_b128 v177, v[28:31] offset:3264
	ds_store_b128 v57, v[8:11] offset:6528
	ds_store_b128 v57, v[32:35] offset:7616
	ds_store_b128 v58, v[12:15] offset:4352
	ds_store_b128 v58, v[36:39] offset:5440
	ds_store_b128 v59, v[16:19] offset:8704
	ds_store_b128 v59, v[40:43] offset:9792
	ds_store_b128 v60, v[20:23] offset:10880
	ds_store_b128 v60, v[44:47] offset:11968
	ds_store_b128 v61, v[52:55] offset:13056
	ds_store_b128 v61, v[48:51] offset:14144
	global_wb scope:SCOPE_SE
	s_wait_dscnt 0x0
	s_barrier_signal -1
	s_barrier_wait -1
	global_inv scope:SCOPE_SE
	s_clause 0xb
	global_load_b128 v[0:3], v56, s[4:5] offset:1904
	global_load_b128 v[4:7], v56, s[4:5] offset:1920
	;; [unrolled: 1-line block ×12, first 2 shown]
	ds_load_b128 v[48:51], v177 offset:2176
	ds_load_b128 v[52:55], v177 offset:4352
	;; [unrolled: 1-line block ×12, first 2 shown]
	s_mov_b32 s4, 0xe976ee23
	s_mov_b32 s5, 0xbfe11646
	s_wait_loadcnt_dscnt 0xb0b
	v_mul_f64_e32 v[98:99], v[50:51], v[2:3]
	v_mul_f64_e32 v[2:3], v[48:49], v[2:3]
	s_wait_loadcnt_dscnt 0xa0a
	v_mul_f64_e32 v[100:101], v[54:55], v[6:7]
	v_mul_f64_e32 v[6:7], v[52:53], v[6:7]
	;; [unrolled: 3-line block ×9, first 2 shown]
	s_wait_loadcnt 0x2
	v_mul_f64_e32 v[116:117], v[82:83], v[38:39]
	v_mul_f64_e32 v[38:39], v[80:81], v[38:39]
	v_fma_f64 v[48:49], v[48:49], v[0:1], -v[98:99]
	v_fma_f64 v[0:1], v[50:51], v[0:1], v[2:3]
	v_fma_f64 v[2:3], v[52:53], v[4:5], -v[100:101]
	v_fma_f64 v[4:5], v[54:55], v[4:5], v[6:7]
	;; [unrolled: 2-line block ×4, first 2 shown]
	s_wait_loadcnt_dscnt 0x101
	v_mul_f64_e32 v[14:15], v[92:93], v[42:43]
	v_mul_f64_e32 v[42:43], v[90:91], v[42:43]
	s_wait_loadcnt_dscnt 0x0
	v_mul_f64_e32 v[50:51], v[96:97], v[46:47]
	v_mul_f64_e32 v[46:47], v[94:95], v[46:47]
	v_fma_f64 v[52:53], v[64:65], v[16:17], -v[106:107]
	v_fma_f64 v[16:17], v[66:67], v[16:17], v[18:19]
	v_fma_f64 v[18:19], v[68:69], v[20:21], -v[108:109]
	v_fma_f64 v[20:21], v[70:71], v[20:21], v[22:23]
	;; [unrolled: 2-line block ×6, first 2 shown]
	v_add_f64_e32 v[38:39], v[48:49], v[6:7]
	v_add_f64_e32 v[54:55], v[0:1], v[8:9]
	;; [unrolled: 1-line block ×4, first 2 shown]
	v_fma_f64 v[14:15], v[90:91], v[40:41], -v[14:15]
	v_fma_f64 v[40:41], v[92:93], v[40:41], v[42:43]
	v_fma_f64 v[42:43], v[94:95], v[44:45], -v[50:51]
	v_fma_f64 v[44:45], v[96:97], v[44:45], v[46:47]
	v_add_f64_e64 v[10:11], v[2:3], -v[10:11]
	v_add_f64_e64 v[12:13], v[4:5], -v[12:13]
	;; [unrolled: 1-line block ×3, first 2 shown]
	v_add_f64_e32 v[46:47], v[52:53], v[22:23]
	v_add_f64_e32 v[50:51], v[16:17], v[24:25]
	v_add_f64_e32 v[60:61], v[18:19], v[26:27]
	v_add_f64_e32 v[62:63], v[20:21], v[28:29]
	v_add_f64_e64 v[18:19], v[18:19], -v[26:27]
	v_add_f64_e64 v[20:21], v[20:21], -v[28:29]
	v_add_f64_e32 v[64:65], v[30:31], v[34:35]
	v_add_f64_e32 v[66:67], v[32:33], v[36:37]
	v_add_f64_e64 v[30:31], v[34:35], -v[30:31]
	v_add_f64_e64 v[32:33], v[36:37], -v[32:33]
	;; [unrolled: 1-line block ×5, first 2 shown]
	v_add_f64_e32 v[0:1], v[56:57], v[38:39]
	v_add_f64_e32 v[2:3], v[58:59], v[54:55]
	;; [unrolled: 1-line block ×4, first 2 shown]
	v_add_f64_e64 v[14:15], v[42:43], -v[14:15]
	v_add_f64_e64 v[26:27], v[44:45], -v[40:41]
	;; [unrolled: 1-line block ×3, first 2 shown]
	v_add_f64_e32 v[24:25], v[60:61], v[46:47]
	v_add_f64_e32 v[28:29], v[62:63], v[50:51]
	v_add_f64_e64 v[36:37], v[38:39], -v[64:65]
	v_add_f64_e64 v[40:41], v[54:55], -v[66:67]
	;; [unrolled: 1-line block ×11, first 2 shown]
	v_add_f64_e32 v[10:11], v[30:31], v[10:11]
	v_add_f64_e32 v[12:13], v[32:33], v[12:13]
	v_add_f64_e64 v[30:31], v[34:35], -v[30:31]
	v_add_f64_e64 v[32:33], v[8:9], -v[32:33]
	v_add_f64_e32 v[64:65], v[64:65], v[0:1]
	v_add_f64_e32 v[66:67], v[66:67], v[2:3]
	v_add_f64_e64 v[72:73], v[46:47], -v[4:5]
	v_add_f64_e64 v[74:75], v[50:51], -v[6:7]
	;; [unrolled: 1-line block ×6, first 2 shown]
	v_add_f64_e32 v[18:19], v[14:15], v[18:19]
	v_add_f64_e32 v[20:21], v[26:27], v[20:21]
	;; [unrolled: 1-line block ×4, first 2 shown]
	ds_load_b128 v[0:3], v176
	ds_load_b128 v[4:7], v177 offset:1088
	v_mul_f64_e32 v[92:93], s[6:7], v[70:71]
	s_wait_alu 0xf1fe
	v_mul_f64_e32 v[36:37], s[0:1], v[36:37]
	v_mul_f64_e32 v[40:41], s[0:1], v[40:41]
	;; [unrolled: 1-line block ×7, first 2 shown]
	v_add_f64_e64 v[14:15], v[22:23], -v[14:15]
	v_add_f64_e64 v[26:27], v[16:17], -v[26:27]
	v_mul_f64_e32 v[94:95], s[6:7], v[80:81]
	v_mul_f64_e32 v[96:97], s[6:7], v[82:83]
	v_add_f64_e64 v[46:47], v[60:61], -v[46:47]
	v_add_f64_e64 v[50:51], v[62:63], -v[50:51]
	v_add_f64_e32 v[10:11], v[10:11], v[34:35]
	v_add_f64_e32 v[8:9], v[12:13], v[8:9]
	global_wb scope:SCOPE_SE
	s_wait_dscnt 0x0
	s_barrier_signal -1
	s_barrier_wait -1
	global_inv scope:SCOPE_SE
	v_add_f64_e32 v[0:1], v[0:1], v[64:65]
	v_add_f64_e32 v[2:3], v[2:3], v[66:67]
	v_mul_f64_e32 v[72:73], s[0:1], v[72:73]
	v_mul_f64_e32 v[74:75], s[0:1], v[74:75]
	;; [unrolled: 1-line block ×6, first 2 shown]
	s_mov_b32 s0, 0x5476071b
	s_mov_b32 s1, 0x3fe77f67
	v_add_f64_e32 v[4:5], v[4:5], v[24:25]
	v_add_f64_e32 v[6:7], v[6:7], v[28:29]
	s_mov_b32 s5, 0xbfe77f67
	s_wait_alu 0xfffe
	s_mov_b32 s4, s0
	v_add_f64_e32 v[12:13], v[18:19], v[22:23]
	v_add_f64_e32 v[16:17], v[20:21], v[16:17]
	v_fma_f64 v[18:19], v[42:43], s[2:3], v[36:37]
	v_fma_f64 v[20:21], v[44:45], s[2:3], v[40:41]
	v_fma_f64 v[22:23], v[38:39], s[0:1], -v[56:57]
	v_fma_f64 v[34:35], v[54:55], s[0:1], -v[58:59]
	v_fma_f64 v[42:43], v[30:31], s[12:13], v[48:49]
	v_fma_f64 v[44:45], v[32:33], s[12:13], v[52:53]
	v_fma_f64 v[30:31], v[30:31], s[14:15], -v[90:91]
	v_fma_f64 v[32:33], v[32:33], s[14:15], -v[92:93]
	s_wait_alu 0xfffe
	v_fma_f64 v[36:37], v[38:39], s[4:5], -v[36:37]
	v_fma_f64 v[38:39], v[54:55], s[4:5], -v[40:41]
	;; [unrolled: 1-line block ×4, first 2 shown]
	v_fma_f64 v[56:57], v[64:65], s[10:11], v[0:1]
	v_fma_f64 v[58:59], v[66:67], s[10:11], v[2:3]
	;; [unrolled: 1-line block ×6, first 2 shown]
	v_fma_f64 v[68:69], v[80:81], s[6:7], -v[76:77]
	v_fma_f64 v[70:71], v[82:83], s[6:7], -v[78:79]
	;; [unrolled: 1-line block ×4, first 2 shown]
	v_fma_f64 v[24:25], v[24:25], s[10:11], v[4:5]
	v_fma_f64 v[28:29], v[28:29], s[10:11], v[6:7]
	v_fma_f64 v[72:73], v[46:47], s[4:5], -v[72:73]
	v_fma_f64 v[74:75], v[50:51], s[4:5], -v[74:75]
	;; [unrolled: 1-line block ×4, first 2 shown]
	s_mov_b32 s0, 0x37c3f68c
	s_mov_b32 s1, 0x3fdc38aa
	s_wait_alu 0xfffe
	v_fma_f64 v[42:43], v[10:11], s[0:1], v[42:43]
	v_fma_f64 v[44:45], v[8:9], s[0:1], v[44:45]
	;; [unrolled: 1-line block ×6, first 2 shown]
	v_add_f64_e32 v[60:61], v[18:19], v[56:57]
	v_add_f64_e32 v[62:63], v[20:21], v[58:59]
	v_add_f64_e32 v[36:37], v[36:37], v[56:57]
	v_add_f64_e32 v[38:39], v[38:39], v[58:59]
	v_add_f64_e32 v[20:21], v[22:23], v[56:57]
	v_add_f64_e32 v[22:23], v[34:35], v[58:59]
	v_fma_f64 v[56:57], v[12:13], s[0:1], v[64:65]
	v_fma_f64 v[58:59], v[16:17], s[0:1], v[66:67]
	;; [unrolled: 1-line block ×6, first 2 shown]
	v_add_f64_e32 v[76:77], v[40:41], v[24:25]
	v_add_f64_e32 v[54:55], v[54:55], v[28:29]
	;; [unrolled: 1-line block ×7, first 2 shown]
	v_add_f64_e64 v[10:11], v[62:63], -v[42:43]
	v_add_f64_e32 v[12:13], v[32:33], v[36:37]
	v_add_f64_e64 v[14:15], v[38:39], -v[30:31]
	v_add_f64_e64 v[16:17], v[20:21], -v[52:53]
	v_add_f64_e32 v[18:19], v[48:49], v[22:23]
	v_add_f64_e32 v[20:21], v[52:53], v[20:21]
	v_add_f64_e64 v[22:23], v[22:23], -v[48:49]
	v_add_f64_e64 v[24:25], v[36:37], -v[32:33]
	v_add_f64_e32 v[26:27], v[30:31], v[38:39]
	v_add_f64_e64 v[28:29], v[60:61], -v[44:45]
	v_add_f64_e32 v[30:31], v[42:43], v[62:63]
	v_add_f64_e32 v[32:33], v[58:59], v[76:77]
	v_add_f64_e64 v[34:35], v[54:55], -v[56:57]
	v_add_f64_e32 v[36:37], v[70:71], v[72:73]
	v_add_f64_e64 v[38:39], v[74:75], -v[68:69]
	v_add_f64_e64 v[40:41], v[46:47], -v[66:67]
	v_add_f64_e32 v[42:43], v[64:65], v[50:51]
	v_add_f64_e32 v[44:45], v[66:67], v[46:47]
	v_add_f64_e64 v[46:47], v[50:51], -v[64:65]
	v_add_f64_e64 v[48:49], v[72:73], -v[70:71]
	v_add_f64_e32 v[50:51], v[68:69], v[74:75]
	v_add_f64_e64 v[52:53], v[76:77], -v[58:59]
	v_add_f64_e32 v[54:55], v[56:57], v[54:55]
	v_lshl_add_u32 v56, v84, 4, 0
	s_delay_alu instid0(VALU_DEP_1)
	v_add_nc_u32_e32 v56, v56, v89
	ds_store_b128 v177, v[0:3]
	ds_store_b128 v177, v[4:7] offset:1088
	ds_store_b128 v177, v[8:11] offset:2176
	;; [unrolled: 1-line block ×13, first 2 shown]
	global_wb scope:SCOPE_SE
	s_wait_dscnt 0x0
	s_barrier_signal -1
	s_barrier_wait -1
	global_inv scope:SCOPE_SE
	s_and_saveexec_b32 s0, vcc_lo
	s_cbranch_execz .LBB0_24
; %bb.23:
	scratch_load_b32 v0, off, off offset:16 th:TH_LOAD_LU ; 4-byte Folded Reload
	v_dual_mov_b32 v85, 0 :: v_dual_add_nc_u32 v8, 0x44, v84
	v_add_nc_u32_e32 v10, 0x88, v84
	v_add_nc_u32_e32 v22, 0xcc, v84
	s_delay_alu instid0(VALU_DEP_3) | instskip(SKIP_3) | instid1(VALU_DEP_4)
	v_dual_mov_b32 v9, v85 :: v_dual_add_nc_u32 v24, 0x110, v84
	v_mov_b32_e32 v11, v85
	v_mov_b32_e32 v23, v85
	;; [unrolled: 1-line block ×3, first 2 shown]
	v_lshlrev_b64_e32 v[18:19], 4, v[8:9]
	s_delay_alu instid0(VALU_DEP_4) | instskip(NEXT) | instid1(VALU_DEP_4)
	v_lshlrev_b64_e32 v[20:21], 4, v[10:11]
	v_lshlrev_b64_e32 v[22:23], 4, v[22:23]
	s_wait_loadcnt 0x0
	v_lshl_add_u32 v34, v84, 4, v0
	scratch_load_b64 v[0:1], off, off offset:8 th:TH_LOAD_LU ; 8-byte Folded Reload
	s_wait_loadcnt 0x0
	v_add_co_u32 v36, vcc_lo, s8, v0
	s_wait_alu 0xfffd
	v_add_co_ci_u32_e32 v37, vcc_lo, s9, v1, vcc_lo
	v_lshlrev_b64_e32 v[0:1], 4, v[84:85]
	s_delay_alu instid0(VALU_DEP_1) | instskip(SKIP_1) | instid1(VALU_DEP_2)
	v_add_co_u32 v16, vcc_lo, v36, v0
	s_wait_alu 0xfffd
	v_add_co_ci_u32_e32 v17, vcc_lo, v37, v1, vcc_lo
	ds_load_b128 v[0:3], v34
	ds_load_b128 v[4:7], v34 offset:1088
	ds_load_b128 v[8:11], v34 offset:2176
	ds_load_b128 v[12:15], v34 offset:3264
	v_add_co_u32 v18, vcc_lo, v36, v18
	s_wait_alu 0xfffd
	v_add_co_ci_u32_e32 v19, vcc_lo, v37, v19, vcc_lo
	v_add_co_u32 v20, vcc_lo, v36, v20
	s_wait_alu 0xfffd
	v_add_co_ci_u32_e32 v21, vcc_lo, v37, v21, vcc_lo
	;; [unrolled: 3-line block ×3, first 2 shown]
	s_wait_dscnt 0x3
	global_store_b128 v[16:17], v[0:3], off
	s_wait_dscnt 0x2
	global_store_b128 v[18:19], v[4:7], off
	;; [unrolled: 2-line block ×4, first 2 shown]
	v_add_nc_u32_e32 v8, 0x154, v84
	v_lshlrev_b64_e32 v[0:1], 4, v[24:25]
	v_dual_mov_b32 v9, v85 :: v_dual_add_nc_u32 v10, 0x198, v84
	v_dual_mov_b32 v11, v85 :: v_dual_add_nc_u32 v22, 0x1dc, v84
	;; [unrolled: 1-line block ×3, first 2 shown]
	s_delay_alu instid0(VALU_DEP_4)
	v_add_co_u32 v16, vcc_lo, v36, v0
	s_wait_alu 0xfffd
	v_add_co_ci_u32_e32 v17, vcc_lo, v37, v1, vcc_lo
	ds_load_b128 v[0:3], v34 offset:4352
	ds_load_b128 v[4:7], v34 offset:5440
	v_lshlrev_b64_e32 v[18:19], 4, v[8:9]
	v_lshlrev_b64_e32 v[20:21], 4, v[10:11]
	ds_load_b128 v[8:11], v34 offset:6528
	ds_load_b128 v[12:15], v34 offset:7616
	v_lshlrev_b64_e32 v[22:23], 4, v[22:23]
	v_add_co_u32 v18, vcc_lo, v36, v18
	s_wait_alu 0xfffd
	v_add_co_ci_u32_e32 v19, vcc_lo, v37, v19, vcc_lo
	v_add_co_u32 v20, vcc_lo, v36, v20
	s_wait_alu 0xfffd
	v_add_co_ci_u32_e32 v21, vcc_lo, v37, v21, vcc_lo
	v_add_co_u32 v22, vcc_lo, v36, v22
	s_wait_dscnt 0x3
	global_store_b128 v[16:17], v[0:3], off
	s_wait_dscnt 0x2
	global_store_b128 v[18:19], v[4:7], off
	v_dual_mov_b32 v3, v85 :: v_dual_add_nc_u32 v2, 0x264, v84
	s_wait_alu 0xfffd
	v_add_co_ci_u32_e32 v23, vcc_lo, v37, v23, vcc_lo
	v_lshlrev_b64_e32 v[0:1], 4, v[24:25]
	s_wait_dscnt 0x1
	global_store_b128 v[20:21], v[8:11], off
	s_wait_dscnt 0x0
	global_store_b128 v[22:23], v[12:15], off
	v_lshlrev_b64_e32 v[8:9], 4, v[2:3]
	v_dual_mov_b32 v11, v85 :: v_dual_add_nc_u32 v10, 0x2a8, v84
	v_add_co_u32 v24, vcc_lo, v36, v0
	s_wait_alu 0xfffd
	v_add_co_ci_u32_e32 v25, vcc_lo, v37, v1, vcc_lo
	s_delay_alu instid0(VALU_DEP_4)
	v_add_co_u32 v26, vcc_lo, v36, v8
	s_wait_alu 0xfffd
	v_add_co_ci_u32_e32 v27, vcc_lo, v37, v9, vcc_lo
	v_lshlrev_b64_e32 v[8:9], 4, v[10:11]
	v_dual_mov_b32 v17, v85 :: v_dual_add_nc_u32 v16, 0x2ec, v84
	v_dual_mov_b32 v19, v85 :: v_dual_add_nc_u32 v18, 0x330, v84
	ds_load_b128 v[0:3], v34 offset:8704
	ds_load_b128 v[4:7], v34 offset:9792
	v_add_co_u32 v28, vcc_lo, v36, v8
	s_wait_alu 0xfffd
	v_add_co_ci_u32_e32 v29, vcc_lo, v37, v9, vcc_lo
	ds_load_b128 v[8:11], v34 offset:10880
	ds_load_b128 v[12:15], v34 offset:11968
	v_lshlrev_b64_e32 v[30:31], 4, v[16:17]
	v_lshlrev_b64_e32 v[32:33], 4, v[18:19]
	ds_load_b128 v[16:19], v34 offset:13056
	ds_load_b128 v[20:23], v34 offset:14144
	v_add_nc_u32_e32 v84, 0x374, v84
	v_add_co_u32 v30, vcc_lo, v36, v30
	s_delay_alu instid0(VALU_DEP_2)
	v_lshlrev_b64_e32 v[34:35], 4, v[84:85]
	s_wait_alu 0xfffd
	v_add_co_ci_u32_e32 v31, vcc_lo, v37, v31, vcc_lo
	v_add_co_u32 v32, vcc_lo, v36, v32
	s_wait_alu 0xfffd
	v_add_co_ci_u32_e32 v33, vcc_lo, v37, v33, vcc_lo
	v_add_co_u32 v34, vcc_lo, v36, v34
	s_wait_alu 0xfffd
	v_add_co_ci_u32_e32 v35, vcc_lo, v37, v35, vcc_lo
	s_wait_dscnt 0x5
	global_store_b128 v[24:25], v[0:3], off
	s_wait_dscnt 0x4
	global_store_b128 v[26:27], v[4:7], off
	;; [unrolled: 2-line block ×6, first 2 shown]
.LBB0_24:
	s_nop 0
	s_sendmsg sendmsg(MSG_DEALLOC_VGPRS)
	s_endpgm
	.section	.rodata,"a",@progbits
	.p2align	6, 0x0
	.amdhsa_kernel fft_rtc_fwd_len952_factors_17_4_2_7_wgs_204_tpt_68_halfLds_dp_ip_CI_unitstride_sbrr_C2R_dirReg
		.amdhsa_group_segment_fixed_size 0
		.amdhsa_private_segment_fixed_size 128
		.amdhsa_kernarg_size 88
		.amdhsa_user_sgpr_count 2
		.amdhsa_user_sgpr_dispatch_ptr 0
		.amdhsa_user_sgpr_queue_ptr 0
		.amdhsa_user_sgpr_kernarg_segment_ptr 1
		.amdhsa_user_sgpr_dispatch_id 0
		.amdhsa_user_sgpr_private_segment_size 0
		.amdhsa_wavefront_size32 1
		.amdhsa_uses_dynamic_stack 0
		.amdhsa_enable_private_segment 1
		.amdhsa_system_sgpr_workgroup_id_x 1
		.amdhsa_system_sgpr_workgroup_id_y 0
		.amdhsa_system_sgpr_workgroup_id_z 0
		.amdhsa_system_sgpr_workgroup_info 0
		.amdhsa_system_vgpr_workitem_id 0
		.amdhsa_next_free_vgpr 256
		.amdhsa_next_free_sgpr 56
		.amdhsa_reserve_vcc 1
		.amdhsa_float_round_mode_32 0
		.amdhsa_float_round_mode_16_64 0
		.amdhsa_float_denorm_mode_32 3
		.amdhsa_float_denorm_mode_16_64 3
		.amdhsa_fp16_overflow 0
		.amdhsa_workgroup_processor_mode 1
		.amdhsa_memory_ordered 1
		.amdhsa_forward_progress 0
		.amdhsa_round_robin_scheduling 0
		.amdhsa_exception_fp_ieee_invalid_op 0
		.amdhsa_exception_fp_denorm_src 0
		.amdhsa_exception_fp_ieee_div_zero 0
		.amdhsa_exception_fp_ieee_overflow 0
		.amdhsa_exception_fp_ieee_underflow 0
		.amdhsa_exception_fp_ieee_inexact 0
		.amdhsa_exception_int_div_zero 0
	.end_amdhsa_kernel
	.text
.Lfunc_end0:
	.size	fft_rtc_fwd_len952_factors_17_4_2_7_wgs_204_tpt_68_halfLds_dp_ip_CI_unitstride_sbrr_C2R_dirReg, .Lfunc_end0-fft_rtc_fwd_len952_factors_17_4_2_7_wgs_204_tpt_68_halfLds_dp_ip_CI_unitstride_sbrr_C2R_dirReg
                                        ; -- End function
	.section	.AMDGPU.csdata,"",@progbits
; Kernel info:
; codeLenInByte = 14792
; NumSgprs: 58
; NumVgprs: 256
; ScratchSize: 128
; MemoryBound: 0
; FloatMode: 240
; IeeeMode: 1
; LDSByteSize: 0 bytes/workgroup (compile time only)
; SGPRBlocks: 7
; VGPRBlocks: 31
; NumSGPRsForWavesPerEU: 58
; NumVGPRsForWavesPerEU: 256
; Occupancy: 5
; WaveLimiterHint : 1
; COMPUTE_PGM_RSRC2:SCRATCH_EN: 1
; COMPUTE_PGM_RSRC2:USER_SGPR: 2
; COMPUTE_PGM_RSRC2:TRAP_HANDLER: 0
; COMPUTE_PGM_RSRC2:TGID_X_EN: 1
; COMPUTE_PGM_RSRC2:TGID_Y_EN: 0
; COMPUTE_PGM_RSRC2:TGID_Z_EN: 0
; COMPUTE_PGM_RSRC2:TIDIG_COMP_CNT: 0
	.text
	.p2alignl 7, 3214868480
	.fill 96, 4, 3214868480
	.type	__hip_cuid_5196037a775c7d05,@object ; @__hip_cuid_5196037a775c7d05
	.section	.bss,"aw",@nobits
	.globl	__hip_cuid_5196037a775c7d05
__hip_cuid_5196037a775c7d05:
	.byte	0                               ; 0x0
	.size	__hip_cuid_5196037a775c7d05, 1

	.ident	"AMD clang version 19.0.0git (https://github.com/RadeonOpenCompute/llvm-project roc-6.4.0 25133 c7fe45cf4b819c5991fe208aaa96edf142730f1d)"
	.section	".note.GNU-stack","",@progbits
	.addrsig
	.addrsig_sym __hip_cuid_5196037a775c7d05
	.amdgpu_metadata
---
amdhsa.kernels:
  - .args:
      - .actual_access:  read_only
        .address_space:  global
        .offset:         0
        .size:           8
        .value_kind:     global_buffer
      - .offset:         8
        .size:           8
        .value_kind:     by_value
      - .actual_access:  read_only
        .address_space:  global
        .offset:         16
        .size:           8
        .value_kind:     global_buffer
      - .actual_access:  read_only
        .address_space:  global
        .offset:         24
        .size:           8
        .value_kind:     global_buffer
      - .offset:         32
        .size:           8
        .value_kind:     by_value
      - .actual_access:  read_only
        .address_space:  global
        .offset:         40
        .size:           8
        .value_kind:     global_buffer
      - .actual_access:  read_only
        .address_space:  global
        .offset:         48
        .size:           8
        .value_kind:     global_buffer
      - .offset:         56
        .size:           4
        .value_kind:     by_value
      - .actual_access:  read_only
        .address_space:  global
        .offset:         64
        .size:           8
        .value_kind:     global_buffer
      - .actual_access:  read_only
        .address_space:  global
        .offset:         72
        .size:           8
        .value_kind:     global_buffer
      - .address_space:  global
        .offset:         80
        .size:           8
        .value_kind:     global_buffer
    .group_segment_fixed_size: 0
    .kernarg_segment_align: 8
    .kernarg_segment_size: 88
    .language:       OpenCL C
    .language_version:
      - 2
      - 0
    .max_flat_workgroup_size: 204
    .name:           fft_rtc_fwd_len952_factors_17_4_2_7_wgs_204_tpt_68_halfLds_dp_ip_CI_unitstride_sbrr_C2R_dirReg
    .private_segment_fixed_size: 128
    .sgpr_count:     58
    .sgpr_spill_count: 0
    .symbol:         fft_rtc_fwd_len952_factors_17_4_2_7_wgs_204_tpt_68_halfLds_dp_ip_CI_unitstride_sbrr_C2R_dirReg.kd
    .uniform_work_group_size: 1
    .uses_dynamic_stack: false
    .vgpr_count:     256
    .vgpr_spill_count: 31
    .wavefront_size: 32
    .workgroup_processor_mode: 1
amdhsa.target:   amdgcn-amd-amdhsa--gfx1201
amdhsa.version:
  - 1
  - 2
...

	.end_amdgpu_metadata
